;; amdgpu-corpus repo=ROCm/rocFFT kind=compiled arch=gfx1201 opt=O3
	.text
	.amdgcn_target "amdgcn-amd-amdhsa--gfx1201"
	.amdhsa_code_object_version 6
	.protected	fft_rtc_fwd_len150_factors_10_5_3_wgs_60_tpt_5_halfLds_sp_op_CI_CI_unitstride_sbrr_dirReg ; -- Begin function fft_rtc_fwd_len150_factors_10_5_3_wgs_60_tpt_5_halfLds_sp_op_CI_CI_unitstride_sbrr_dirReg
	.globl	fft_rtc_fwd_len150_factors_10_5_3_wgs_60_tpt_5_halfLds_sp_op_CI_CI_unitstride_sbrr_dirReg
	.p2align	8
	.type	fft_rtc_fwd_len150_factors_10_5_3_wgs_60_tpt_5_halfLds_sp_op_CI_CI_unitstride_sbrr_dirReg,@function
fft_rtc_fwd_len150_factors_10_5_3_wgs_60_tpt_5_halfLds_sp_op_CI_CI_unitstride_sbrr_dirReg: ; @fft_rtc_fwd_len150_factors_10_5_3_wgs_60_tpt_5_halfLds_sp_op_CI_CI_unitstride_sbrr_dirReg
; %bb.0:
	s_load_b128 s[8:11], s[0:1], 0x0
	v_mul_u32_u24_e32 v1, 0x3334, v0
	s_clause 0x1
	s_load_b128 s[4:7], s[0:1], 0x58
	s_load_b128 s[12:15], s[0:1], 0x18
	v_dual_mov_b32 v5, 0 :: v_dual_mov_b32 v32, 0
	v_mov_b32_e32 v33, 0
	v_lshrrev_b32_e32 v1, 16, v1
	s_delay_alu instid0(VALU_DEP_1) | instskip(NEXT) | instid1(VALU_DEP_4)
	v_mad_co_u64_u32 v[29:30], null, ttmp9, 12, v[1:2]
	v_dual_mov_b32 v30, v5 :: v_dual_mov_b32 v1, v32
	s_delay_alu instid0(VALU_DEP_2) | instskip(NEXT) | instid1(VALU_DEP_2)
	v_dual_mov_b32 v2, v33 :: v_dual_mov_b32 v3, v29
	v_mov_b32_e32 v4, v30
	s_wait_kmcnt 0x0
	v_cmp_lt_u64_e64 s2, s[10:11], 2
	s_delay_alu instid0(VALU_DEP_1)
	s_and_b32 vcc_lo, exec_lo, s2
	s_cbranch_vccnz .LBB0_8
; %bb.1:
	s_load_b64 s[2:3], s[0:1], 0x10
	v_dual_mov_b32 v32, 0 :: v_dual_mov_b32 v7, v29
	v_dual_mov_b32 v33, 0 :: v_dual_mov_b32 v8, v30
	s_delay_alu instid0(VALU_DEP_2) | instskip(SKIP_2) | instid1(VALU_DEP_2)
	v_mov_b32_e32 v1, v32
	s_add_nc_u64 s[16:17], s[14:15], 8
	s_add_nc_u64 s[18:19], s[12:13], 8
	v_mov_b32_e32 v2, v33
	s_mov_b64 s[20:21], 1
	s_wait_kmcnt 0x0
	s_add_nc_u64 s[22:23], s[2:3], 8
	s_mov_b32 s3, 0
.LBB0_2:                                ; =>This Inner Loop Header: Depth=1
	s_load_b64 s[24:25], s[22:23], 0x0
                                        ; implicit-def: $vgpr3_vgpr4
	s_mov_b32 s2, exec_lo
	s_wait_kmcnt 0x0
	v_or_b32_e32 v6, s25, v8
	s_delay_alu instid0(VALU_DEP_1)
	v_cmpx_ne_u64_e32 0, v[5:6]
	s_wait_alu 0xfffe
	s_xor_b32 s26, exec_lo, s2
	s_cbranch_execz .LBB0_4
; %bb.3:                                ;   in Loop: Header=BB0_2 Depth=1
	s_cvt_f32_u32 s2, s24
	s_cvt_f32_u32 s27, s25
	s_sub_nc_u64 s[30:31], 0, s[24:25]
	s_wait_alu 0xfffe
	s_delay_alu instid0(SALU_CYCLE_1) | instskip(SKIP_1) | instid1(SALU_CYCLE_2)
	s_fmamk_f32 s2, s27, 0x4f800000, s2
	s_wait_alu 0xfffe
	v_s_rcp_f32 s2, s2
	s_delay_alu instid0(TRANS32_DEP_1) | instskip(SKIP_1) | instid1(SALU_CYCLE_2)
	s_mul_f32 s2, s2, 0x5f7ffffc
	s_wait_alu 0xfffe
	s_mul_f32 s27, s2, 0x2f800000
	s_wait_alu 0xfffe
	s_delay_alu instid0(SALU_CYCLE_2) | instskip(SKIP_1) | instid1(SALU_CYCLE_2)
	s_trunc_f32 s27, s27
	s_wait_alu 0xfffe
	s_fmamk_f32 s2, s27, 0xcf800000, s2
	s_cvt_u32_f32 s29, s27
	s_wait_alu 0xfffe
	s_delay_alu instid0(SALU_CYCLE_1) | instskip(SKIP_1) | instid1(SALU_CYCLE_2)
	s_cvt_u32_f32 s28, s2
	s_wait_alu 0xfffe
	s_mul_u64 s[34:35], s[30:31], s[28:29]
	s_wait_alu 0xfffe
	s_mul_hi_u32 s37, s28, s35
	s_mul_i32 s36, s28, s35
	s_mul_hi_u32 s2, s28, s34
	s_mul_i32 s33, s29, s34
	s_wait_alu 0xfffe
	s_add_nc_u64 s[36:37], s[2:3], s[36:37]
	s_mul_hi_u32 s27, s29, s34
	s_mul_hi_u32 s38, s29, s35
	s_add_co_u32 s2, s36, s33
	s_wait_alu 0xfffe
	s_add_co_ci_u32 s2, s37, s27
	s_mul_i32 s34, s29, s35
	s_add_co_ci_u32 s35, s38, 0
	s_wait_alu 0xfffe
	s_add_nc_u64 s[34:35], s[2:3], s[34:35]
	s_wait_alu 0xfffe
	v_add_co_u32 v3, s2, s28, s34
	s_delay_alu instid0(VALU_DEP_1) | instskip(SKIP_1) | instid1(VALU_DEP_1)
	s_cmp_lg_u32 s2, 0
	s_add_co_ci_u32 s29, s29, s35
	v_readfirstlane_b32 s28, v3
	s_wait_alu 0xfffe
	s_delay_alu instid0(VALU_DEP_1)
	s_mul_u64 s[30:31], s[30:31], s[28:29]
	s_wait_alu 0xfffe
	s_mul_hi_u32 s35, s28, s31
	s_mul_i32 s34, s28, s31
	s_mul_hi_u32 s2, s28, s30
	s_mul_i32 s33, s29, s30
	s_wait_alu 0xfffe
	s_add_nc_u64 s[34:35], s[2:3], s[34:35]
	s_mul_hi_u32 s27, s29, s30
	s_mul_hi_u32 s28, s29, s31
	s_wait_alu 0xfffe
	s_add_co_u32 s2, s34, s33
	s_add_co_ci_u32 s2, s35, s27
	s_mul_i32 s30, s29, s31
	s_add_co_ci_u32 s31, s28, 0
	s_wait_alu 0xfffe
	s_add_nc_u64 s[30:31], s[2:3], s[30:31]
	s_wait_alu 0xfffe
	v_add_co_u32 v6, s2, v3, s30
	s_delay_alu instid0(VALU_DEP_1) | instskip(SKIP_1) | instid1(VALU_DEP_1)
	s_cmp_lg_u32 s2, 0
	s_add_co_ci_u32 s2, s29, s31
	v_mul_hi_u32 v13, v7, v6
	s_wait_alu 0xfffe
	v_mad_co_u64_u32 v[3:4], null, v7, s2, 0
	v_mad_co_u64_u32 v[9:10], null, v8, v6, 0
	;; [unrolled: 1-line block ×3, first 2 shown]
	s_delay_alu instid0(VALU_DEP_3) | instskip(SKIP_1) | instid1(VALU_DEP_4)
	v_add_co_u32 v3, vcc_lo, v13, v3
	s_wait_alu 0xfffd
	v_add_co_ci_u32_e32 v4, vcc_lo, 0, v4, vcc_lo
	s_delay_alu instid0(VALU_DEP_2) | instskip(SKIP_1) | instid1(VALU_DEP_2)
	v_add_co_u32 v3, vcc_lo, v3, v9
	s_wait_alu 0xfffd
	v_add_co_ci_u32_e32 v3, vcc_lo, v4, v10, vcc_lo
	s_wait_alu 0xfffd
	v_add_co_ci_u32_e32 v4, vcc_lo, 0, v12, vcc_lo
	s_delay_alu instid0(VALU_DEP_2) | instskip(SKIP_1) | instid1(VALU_DEP_2)
	v_add_co_u32 v6, vcc_lo, v3, v11
	s_wait_alu 0xfffd
	v_add_co_ci_u32_e32 v9, vcc_lo, 0, v4, vcc_lo
	s_delay_alu instid0(VALU_DEP_2) | instskip(SKIP_1) | instid1(VALU_DEP_3)
	v_mul_lo_u32 v10, s25, v6
	v_mad_co_u64_u32 v[3:4], null, s24, v6, 0
	v_mul_lo_u32 v11, s24, v9
	s_delay_alu instid0(VALU_DEP_2) | instskip(NEXT) | instid1(VALU_DEP_2)
	v_sub_co_u32 v3, vcc_lo, v7, v3
	v_add3_u32 v4, v4, v11, v10
	s_delay_alu instid0(VALU_DEP_1) | instskip(SKIP_1) | instid1(VALU_DEP_1)
	v_sub_nc_u32_e32 v10, v8, v4
	s_wait_alu 0xfffd
	v_subrev_co_ci_u32_e64 v10, s2, s25, v10, vcc_lo
	v_add_co_u32 v11, s2, v6, 2
	s_wait_alu 0xf1ff
	v_add_co_ci_u32_e64 v12, s2, 0, v9, s2
	v_sub_co_u32 v13, s2, v3, s24
	v_sub_co_ci_u32_e32 v4, vcc_lo, v8, v4, vcc_lo
	s_wait_alu 0xf1ff
	v_subrev_co_ci_u32_e64 v10, s2, 0, v10, s2
	s_delay_alu instid0(VALU_DEP_3) | instskip(NEXT) | instid1(VALU_DEP_3)
	v_cmp_le_u32_e32 vcc_lo, s24, v13
	v_cmp_eq_u32_e64 s2, s25, v4
	s_wait_alu 0xfffd
	v_cndmask_b32_e64 v13, 0, -1, vcc_lo
	v_cmp_le_u32_e32 vcc_lo, s25, v10
	s_wait_alu 0xfffd
	v_cndmask_b32_e64 v14, 0, -1, vcc_lo
	v_cmp_le_u32_e32 vcc_lo, s24, v3
	;; [unrolled: 3-line block ×3, first 2 shown]
	s_wait_alu 0xfffd
	v_cndmask_b32_e64 v15, 0, -1, vcc_lo
	v_cmp_eq_u32_e32 vcc_lo, s25, v10
	s_wait_alu 0xf1ff
	s_delay_alu instid0(VALU_DEP_2)
	v_cndmask_b32_e64 v3, v15, v3, s2
	s_wait_alu 0xfffd
	v_cndmask_b32_e32 v10, v14, v13, vcc_lo
	v_add_co_u32 v13, vcc_lo, v6, 1
	s_wait_alu 0xfffd
	v_add_co_ci_u32_e32 v14, vcc_lo, 0, v9, vcc_lo
	s_delay_alu instid0(VALU_DEP_3) | instskip(SKIP_1) | instid1(VALU_DEP_2)
	v_cmp_ne_u32_e32 vcc_lo, 0, v10
	s_wait_alu 0xfffd
	v_cndmask_b32_e32 v4, v14, v12, vcc_lo
	v_cndmask_b32_e32 v10, v13, v11, vcc_lo
	v_cmp_ne_u32_e32 vcc_lo, 0, v3
	s_wait_alu 0xfffd
	s_delay_alu instid0(VALU_DEP_2)
	v_dual_cndmask_b32 v4, v9, v4 :: v_dual_cndmask_b32 v3, v6, v10
.LBB0_4:                                ;   in Loop: Header=BB0_2 Depth=1
	s_wait_alu 0xfffe
	s_and_not1_saveexec_b32 s2, s26
	s_cbranch_execz .LBB0_6
; %bb.5:                                ;   in Loop: Header=BB0_2 Depth=1
	v_cvt_f32_u32_e32 v3, s24
	s_sub_co_i32 s26, 0, s24
	s_delay_alu instid0(VALU_DEP_1) | instskip(NEXT) | instid1(TRANS32_DEP_1)
	v_rcp_iflag_f32_e32 v3, v3
	v_mul_f32_e32 v3, 0x4f7ffffe, v3
	s_delay_alu instid0(VALU_DEP_1) | instskip(SKIP_1) | instid1(VALU_DEP_1)
	v_cvt_u32_f32_e32 v3, v3
	s_wait_alu 0xfffe
	v_mul_lo_u32 v4, s26, v3
	s_delay_alu instid0(VALU_DEP_1) | instskip(NEXT) | instid1(VALU_DEP_1)
	v_mul_hi_u32 v4, v3, v4
	v_add_nc_u32_e32 v3, v3, v4
	s_delay_alu instid0(VALU_DEP_1) | instskip(NEXT) | instid1(VALU_DEP_1)
	v_mul_hi_u32 v3, v7, v3
	v_mul_lo_u32 v4, v3, s24
	v_add_nc_u32_e32 v6, 1, v3
	s_delay_alu instid0(VALU_DEP_2) | instskip(NEXT) | instid1(VALU_DEP_1)
	v_sub_nc_u32_e32 v4, v7, v4
	v_subrev_nc_u32_e32 v9, s24, v4
	v_cmp_le_u32_e32 vcc_lo, s24, v4
	s_wait_alu 0xfffd
	s_delay_alu instid0(VALU_DEP_2) | instskip(NEXT) | instid1(VALU_DEP_1)
	v_dual_cndmask_b32 v4, v4, v9 :: v_dual_cndmask_b32 v3, v3, v6
	v_cmp_le_u32_e32 vcc_lo, s24, v4
	v_mov_b32_e32 v4, v5
	s_delay_alu instid0(VALU_DEP_3) | instskip(SKIP_1) | instid1(VALU_DEP_1)
	v_add_nc_u32_e32 v6, 1, v3
	s_wait_alu 0xfffd
	v_cndmask_b32_e32 v3, v3, v6, vcc_lo
.LBB0_6:                                ;   in Loop: Header=BB0_2 Depth=1
	s_wait_alu 0xfffe
	s_or_b32 exec_lo, exec_lo, s2
	v_mul_lo_u32 v6, v4, s24
	s_delay_alu instid0(VALU_DEP_2)
	v_mul_lo_u32 v11, v3, s25
	s_load_b64 s[26:27], s[18:19], 0x0
	v_mad_co_u64_u32 v[9:10], null, v3, s24, 0
	s_load_b64 s[24:25], s[16:17], 0x0
	s_add_nc_u64 s[20:21], s[20:21], 1
	s_add_nc_u64 s[16:17], s[16:17], 8
	s_wait_alu 0xfffe
	v_cmp_ge_u64_e64 s2, s[20:21], s[10:11]
	s_add_nc_u64 s[18:19], s[18:19], 8
	s_add_nc_u64 s[22:23], s[22:23], 8
	v_add3_u32 v6, v10, v11, v6
	v_sub_co_u32 v7, vcc_lo, v7, v9
	s_wait_alu 0xfffd
	s_delay_alu instid0(VALU_DEP_2) | instskip(SKIP_2) | instid1(VALU_DEP_1)
	v_sub_co_ci_u32_e32 v6, vcc_lo, v8, v6, vcc_lo
	s_and_b32 vcc_lo, exec_lo, s2
	s_wait_kmcnt 0x0
	v_mul_lo_u32 v8, s26, v6
	v_mul_lo_u32 v9, s27, v7
	v_mad_co_u64_u32 v[32:33], null, s26, v7, v[32:33]
	v_mul_lo_u32 v6, s24, v6
	v_mul_lo_u32 v10, s25, v7
	v_mad_co_u64_u32 v[1:2], null, s24, v7, v[1:2]
	s_delay_alu instid0(VALU_DEP_4) | instskip(NEXT) | instid1(VALU_DEP_2)
	v_add3_u32 v33, v9, v33, v8
	v_add3_u32 v2, v10, v2, v6
	s_wait_alu 0xfffe
	s_cbranch_vccnz .LBB0_8
; %bb.7:                                ;   in Loop: Header=BB0_2 Depth=1
	v_dual_mov_b32 v8, v4 :: v_dual_mov_b32 v7, v3
	s_branch .LBB0_2
.LBB0_8:
	s_load_b64 s[0:1], s[0:1], 0x28
	v_mul_hi_u32 v5, 0x33333334, v0
	s_lshl_b64 s[10:11], s[10:11], 3
                                        ; implicit-def: $vgpr67
                                        ; implicit-def: $vgpr68
                                        ; implicit-def: $vgpr69
	s_wait_kmcnt 0x0
	v_cmp_gt_u64_e32 vcc_lo, s[0:1], v[3:4]
	v_cmp_le_u64_e64 s0, s[0:1], v[3:4]
	s_delay_alu instid0(VALU_DEP_1)
	s_and_saveexec_b32 s1, s0
	s_wait_alu 0xfffe
	s_xor_b32 s0, exec_lo, s1
; %bb.9:
	v_mul_u32_u24_e32 v5, 5, v5
                                        ; implicit-def: $vgpr32_vgpr33
	s_delay_alu instid0(VALU_DEP_1) | instskip(NEXT) | instid1(VALU_DEP_1)
	v_sub_nc_u32_e32 v67, v0, v5
                                        ; implicit-def: $vgpr5
                                        ; implicit-def: $vgpr0
	v_or_b32_e32 v68, 40, v67
	v_or_b32_e32 v69, 0x50, v67
; %bb.10:
	s_wait_alu 0xfffe
	s_or_saveexec_b32 s1, s0
	s_add_nc_u64 s[2:3], s[14:15], s[10:11]
                                        ; implicit-def: $vgpr14
                                        ; implicit-def: $vgpr24
                                        ; implicit-def: $vgpr16
                                        ; implicit-def: $vgpr22
                                        ; implicit-def: $vgpr12
                                        ; implicit-def: $vgpr20
                                        ; implicit-def: $vgpr10
                                        ; implicit-def: $vgpr18
                                        ; implicit-def: $vgpr8
                                        ; implicit-def: $vgpr6
                                        ; implicit-def: $vgpr42
                                        ; implicit-def: $vgpr64
                                        ; implicit-def: $vgpr46
                                        ; implicit-def: $vgpr62
                                        ; implicit-def: $vgpr38
                                        ; implicit-def: $vgpr60
                                        ; implicit-def: $vgpr44
                                        ; implicit-def: $vgpr54
                                        ; implicit-def: $vgpr28
                                        ; implicit-def: $vgpr26
                                        ; implicit-def: $vgpr34
                                        ; implicit-def: $vgpr56
                                        ; implicit-def: $vgpr50
                                        ; implicit-def: $vgpr66
                                        ; implicit-def: $vgpr48
                                        ; implicit-def: $vgpr52
                                        ; implicit-def: $vgpr36
                                        ; implicit-def: $vgpr58
                                        ; implicit-def: $vgpr31
                                        ; implicit-def: $vgpr40
	s_wait_alu 0xfffe
	s_xor_b32 exec_lo, exec_lo, s1
	s_cbranch_execz .LBB0_12
; %bb.11:
	s_add_nc_u64 s[10:11], s[12:13], s[10:11]
	s_load_b64 s[10:11], s[10:11], 0x0
	s_wait_kmcnt 0x0
	v_mul_lo_u32 v8, s11, v3
	v_mul_lo_u32 v9, s10, v4
	v_mad_co_u64_u32 v[6:7], null, s10, v3, 0
	s_delay_alu instid0(VALU_DEP_1) | instskip(SKIP_1) | instid1(VALU_DEP_2)
	v_add3_u32 v7, v7, v9, v8
	v_mul_u32_u24_e32 v9, 5, v5
	v_lshlrev_b64_e32 v[5:6], 3, v[6:7]
	v_lshlrev_b64_e32 v[7:8], 3, v[32:33]
	s_delay_alu instid0(VALU_DEP_3) | instskip(NEXT) | instid1(VALU_DEP_3)
	v_sub_nc_u32_e32 v67, v0, v9
	v_add_co_u32 v0, s0, s4, v5
	s_wait_alu 0xf1ff
	s_delay_alu instid0(VALU_DEP_4) | instskip(NEXT) | instid1(VALU_DEP_3)
	v_add_co_ci_u32_e64 v5, s0, s5, v6, s0
	v_lshlrev_b32_e32 v6, 3, v67
	s_delay_alu instid0(VALU_DEP_3) | instskip(SKIP_1) | instid1(VALU_DEP_3)
	v_add_co_u32 v0, s0, v0, v7
	s_wait_alu 0xf1ff
	v_add_co_ci_u32_e64 v5, s0, v5, v8, s0
	v_or_b32_e32 v69, 0x50, v67
	s_delay_alu instid0(VALU_DEP_3) | instskip(SKIP_1) | instid1(VALU_DEP_3)
	v_add_co_u32 v13, s0, v0, v6
	s_wait_alu 0xf1ff
	v_add_co_ci_u32_e64 v14, s0, 0, v5, s0
	v_or_b32_e32 v68, 40, v67
	s_clause 0x1d
	global_load_b64 v[39:40], v[13:14], off
	global_load_b64 v[25:26], v[13:14], off offset:40
	global_load_b64 v[27:28], v[13:14], off offset:160
	;; [unrolled: 1-line block ×29, first 2 shown]
.LBB0_12:
	s_or_b32 exec_lo, exec_lo, s1
	v_mul_hi_u32 v0, 0xaaaaaaab, v29
	s_wait_loadcnt 0x11
	v_dual_add_f32 v32, v57, v39 :: v_dual_sub_f32 v71, v58, v56
	s_wait_loadcnt 0x9
	v_dual_add_f32 v70, v65, v51 :: v_dual_add_f32 v75, v55, v57
	v_dual_sub_f32 v72, v52, v66 :: v_dual_sub_f32 v73, v57, v51
	v_dual_sub_f32 v74, v55, v65 :: v_dual_sub_f32 v77, v65, v55
	v_lshrrev_b32_e32 v0, 3, v0
	s_delay_alu instid0(VALU_DEP_4) | instskip(NEXT) | instid1(VALU_DEP_3)
	v_fma_f32 v70, -0.5, v70, v39
	v_dual_add_f32 v32, v51, v32 :: v_dual_add_f32 v73, v74, v73
	v_dual_sub_f32 v76, v51, v57 :: v_dual_fmac_f32 v39, -0.5, v75
	s_delay_alu instid0(VALU_DEP_4) | instskip(NEXT) | instid1(VALU_DEP_4)
	v_mul_lo_u32 v0, v0, 12
	v_fmamk_f32 v78, v71, 0x3f737871, v70
	v_sub_f32_e32 v51, v51, v65
	s_load_b64 s[2:3], s[2:3], 0x0
	v_fmamk_f32 v74, v72, 0xbf737871, v39
	v_fmac_f32_e32 v39, 0x3f737871, v72
	v_sub_nc_u32_e32 v0, v29, v0
	v_add_f32_e32 v29, v58, v40
	v_dual_add_f32 v32, v65, v32 :: v_dual_sub_f32 v65, v56, v66
	v_fmac_f32_e32 v74, 0x3f167918, v71
	s_delay_alu instid0(VALU_DEP_4) | instskip(NEXT) | instid1(VALU_DEP_4)
	v_mul_u32_u24_e32 v0, 0x96, v0
	v_dual_add_f32 v29, v52, v29 :: v_dual_fmac_f32 v70, 0xbf737871, v71
	s_delay_alu instid0(VALU_DEP_4) | instskip(SKIP_2) | instid1(VALU_DEP_4)
	v_add_f32_e32 v75, v55, v32
	v_fmac_f32_e32 v78, 0x3f167918, v72
	v_add_f32_e32 v32, v66, v52
	v_dual_add_f32 v29, v66, v29 :: v_dual_fmac_f32 v70, 0xbf167918, v72
	v_lshlrev_b32_e32 v0, 2, v0
	s_delay_alu instid0(VALU_DEP_4) | instskip(NEXT) | instid1(VALU_DEP_4)
	v_fmac_f32_e32 v78, 0x3e9e377a, v73
	v_fma_f32 v72, -0.5, v32, v40
	v_dual_sub_f32 v32, v57, v55 :: v_dual_add_f32 v55, v56, v58
	v_dual_add_f32 v76, v77, v76 :: v_dual_fmac_f32 v39, 0xbf167918, v71
	v_sub_f32_e32 v57, v58, v52
	s_delay_alu instid0(VALU_DEP_3) | instskip(NEXT) | instid1(VALU_DEP_4)
	v_fmamk_f32 v71, v32, 0xbf737871, v72
	v_fmac_f32_e32 v40, -0.5, v55
	s_delay_alu instid0(VALU_DEP_4) | instskip(SKIP_1) | instid1(VALU_DEP_4)
	v_dual_fmac_f32 v70, 0x3e9e377a, v73 :: v_dual_fmac_f32 v39, 0x3e9e377a, v76
	v_dual_fmac_f32 v74, 0x3e9e377a, v76 :: v_dual_add_f32 v73, v56, v29
	v_dual_fmac_f32 v71, 0xbf167918, v51 :: v_dual_sub_f32 v52, v52, v58
	v_dual_add_f32 v29, v65, v57 :: v_dual_fmac_f32 v72, 0x3f737871, v32
	v_fmamk_f32 v65, v51, 0x3f737871, v40
	s_wait_loadcnt 0x5
	v_dual_sub_f32 v55, v66, v56 :: v_dual_add_f32 v56, v49, v47
	v_fmac_f32_e32 v40, 0xbf737871, v51
	v_fmac_f32_e32 v72, 0x3f167918, v51
	s_delay_alu instid0(VALU_DEP_3)
	v_dual_fmac_f32 v71, 0x3e9e377a, v29 :: v_dual_add_f32 v52, v55, v52
	v_fmac_f32_e32 v65, 0xbf167918, v32
	v_add_f32_e32 v51, v35, v30
	v_fma_f32 v55, -0.5, v56, v30
	s_wait_loadcnt 0x3
	v_sub_f32_e32 v56, v36, v34
	v_dual_fmac_f32 v72, 0x3e9e377a, v29 :: v_dual_fmac_f32 v65, 0x3e9e377a, v52
	v_add_f32_e32 v29, v47, v51
	v_dual_sub_f32 v51, v48, v50 :: v_dual_fmac_f32 v40, 0x3f167918, v32
	s_delay_alu instid0(VALU_DEP_4) | instskip(SKIP_2) | instid1(VALU_DEP_3)
	v_dual_sub_f32 v57, v35, v47 :: v_dual_fmamk_f32 v32, v56, 0x3f737871, v55
	v_dual_sub_f32 v58, v33, v49 :: v_dual_fmac_f32 v55, 0xbf737871, v56
	v_add_f32_e32 v66, v33, v35
	v_dual_add_f32 v29, v49, v29 :: v_dual_fmac_f32 v32, 0x3f167918, v51
	s_delay_alu instid0(VALU_DEP_3) | instskip(NEXT) | instid1(VALU_DEP_3)
	v_add_f32_e32 v57, v58, v57
	v_dual_fmac_f32 v55, 0xbf167918, v51 :: v_dual_fmac_f32 v30, -0.5, v66
	v_fmac_f32_e32 v40, 0x3e9e377a, v52
	s_delay_alu instid0(VALU_DEP_4) | instskip(NEXT) | instid1(VALU_DEP_4)
	v_add_f32_e32 v52, v33, v29
	v_fmac_f32_e32 v32, 0x3e9e377a, v57
	s_delay_alu instid0(VALU_DEP_4)
	v_fmac_f32_e32 v55, 0x3e9e377a, v57
	v_add_f32_e32 v57, v50, v48
	v_fmamk_f32 v29, v51, 0xbf737871, v30
	v_sub_f32_e32 v58, v47, v35
	v_sub_f32_e32 v66, v49, v33
	v_dual_fmac_f32 v30, 0x3f737871, v51 :: v_dual_sub_f32 v33, v35, v33
	v_fma_f32 v51, -0.5, v57, v31
	v_fmac_f32_e32 v29, 0x3f167918, v56
	v_add_f32_e32 v57, v34, v36
	s_delay_alu instid0(VALU_DEP_4) | instskip(SKIP_2) | instid1(VALU_DEP_3)
	v_dual_add_f32 v35, v66, v58 :: v_dual_fmac_f32 v30, 0xbf167918, v56
	v_dual_add_f32 v56, v36, v31 :: v_dual_sub_f32 v47, v47, v49
	v_fmamk_f32 v58, v33, 0xbf737871, v51
	v_fmac_f32_e32 v29, 0x3e9e377a, v35
	s_delay_alu instid0(VALU_DEP_4) | instskip(NEXT) | instid1(VALU_DEP_3)
	v_dual_fmac_f32 v30, 0x3e9e377a, v35 :: v_dual_fmac_f32 v31, -0.5, v57
	v_dual_add_f32 v35, v48, v56 :: v_dual_fmac_f32 v58, 0xbf167918, v47
	v_dual_sub_f32 v49, v36, v48 :: v_dual_sub_f32 v56, v34, v50
	s_delay_alu instid0(VALU_DEP_3) | instskip(SKIP_1) | instid1(VALU_DEP_3)
	v_dual_fmamk_f32 v57, v47, 0x3f737871, v31 :: v_dual_sub_f32 v36, v48, v36
	v_dual_sub_f32 v48, v50, v34 :: v_dual_fmac_f32 v31, 0xbf737871, v47
	v_add_f32_e32 v49, v56, v49
	v_fmac_f32_e32 v51, 0x3f737871, v33
	v_mul_f32_e32 v76, 0xbf167918, v32
	s_delay_alu instid0(VALU_DEP_4) | instskip(NEXT) | instid1(VALU_DEP_4)
	v_dual_add_f32 v36, v48, v36 :: v_dual_mul_f32 v77, 0xbf737871, v29
	v_fmac_f32_e32 v58, 0x3e9e377a, v49
	s_delay_alu instid0(VALU_DEP_4) | instskip(SKIP_1) | instid1(VALU_DEP_3)
	v_fmac_f32_e32 v51, 0x3f167918, v47
	v_mul_f32_e32 v47, 0x3e9e377a, v30
	v_fmac_f32_e32 v76, 0x3f4f1bbd, v58
	v_fmac_f32_e32 v31, 0x3f167918, v33
	s_delay_alu instid0(VALU_DEP_1) | instskip(NEXT) | instid1(VALU_DEP_1)
	v_fmac_f32_e32 v31, 0x3e9e377a, v36
	v_fma_f32 v56, 0x3f737871, v31, -v47
	v_fmac_f32_e32 v57, 0xbf167918, v33
	v_add_f32_e32 v33, v50, v35
	v_mul_f32_e32 v35, 0x3f4f1bbd, v32
	s_delay_alu instid0(VALU_DEP_4) | instskip(NEXT) | instid1(VALU_DEP_4)
	v_dual_add_f32 v47, v52, v75 :: v_dual_add_f32 v50, v39, v56
	v_dual_fmac_f32 v57, 0x3e9e377a, v36 :: v_dual_mul_f32 v36, 0x3e9e377a, v29
	s_delay_alu instid0(VALU_DEP_3) | instskip(SKIP_2) | instid1(VALU_DEP_4)
	v_dual_fmac_f32 v35, 0x3f167918, v58 :: v_dual_add_f32 v34, v34, v33
	v_mul_f32_e32 v33, 0x3f4f1bbd, v55
	v_mul_f32_e32 v29, 0x3e9e377a, v31
	v_fmac_f32_e32 v36, 0x3f737871, v57
	s_delay_alu instid0(VALU_DEP_4) | instskip(SKIP_1) | instid1(VALU_DEP_4)
	v_dual_add_f32 v48, v78, v35 :: v_dual_fmac_f32 v51, 0x3e9e377a, v49
	v_fmac_f32_e32 v77, 0x3e9e377a, v57
	v_fma_f32 v79, 0xbf737871, v30, -v29
	s_delay_alu instid0(VALU_DEP_4)
	v_add_f32_e32 v49, v74, v36
	v_dual_add_f32 v29, v34, v73 :: v_dual_sub_f32 v52, v75, v52
	v_sub_f32_e32 v58, v74, v36
	v_sub_f32_e32 v36, v65, v77
	;; [unrolled: 1-line block ×3, first 2 shown]
	v_fma_f32 v66, 0x3f167918, v51, -v33
	v_dual_sub_f32 v74, v53, v59 :: v_dual_sub_f32 v75, v63, v61
	v_mul_f32_e32 v31, 0x3f4f1bbd, v51
	v_sub_f32_e32 v73, v60, v62
	s_delay_alu instid0(VALU_DEP_4) | instskip(NEXT) | instid1(VALU_DEP_4)
	v_dual_add_f32 v51, v70, v66 :: v_dual_add_f32 v30, v71, v76
	v_add_f32_e32 v74, v75, v74
	s_delay_alu instid0(VALU_DEP_4)
	v_fma_f32 v80, 0xbf167918, v55, -v31
	v_dual_sub_f32 v55, v39, v56 :: v_dual_sub_f32 v56, v70, v66
	v_sub_f32_e32 v70, v54, v64
	v_sub_f32_e32 v57, v78, v35
	v_dual_add_f32 v35, v61, v59 :: v_dual_add_f32 v78, v62, v60
	v_add_f32_e32 v39, v53, v25
	v_dual_sub_f32 v75, v59, v53 :: v_dual_add_f32 v32, v40, v79
	s_delay_alu instid0(VALU_DEP_3) | instskip(SKIP_3) | instid1(VALU_DEP_4)
	v_fma_f32 v66, -0.5, v35, v25
	v_sub_f32_e32 v35, v71, v76
	v_dual_add_f32 v76, v63, v53 :: v_dual_sub_f32 v53, v53, v63
	v_add_f32_e32 v31, v65, v77
	v_fmamk_f32 v71, v70, 0x3f737871, v66
	s_delay_alu instid0(VALU_DEP_3) | instskip(SKIP_2) | instid1(VALU_DEP_2)
	v_dual_fmac_f32 v66, 0xbf737871, v70 :: v_dual_fmac_f32 v25, -0.5, v76
	v_dual_sub_f32 v76, v61, v63 :: v_dual_add_f32 v33, v72, v80
	v_add_f32_e32 v77, v54, v26
	v_add_f32_e32 v75, v76, v75
	v_fma_f32 v76, -0.5, v78, v26
	v_add_f32_e32 v65, v59, v39
	v_sub_f32_e32 v39, v40, v79
	v_sub_f32_e32 v40, v72, v80
	v_dual_fmamk_f32 v72, v73, 0xbf737871, v25 :: v_dual_sub_f32 v59, v59, v61
	s_delay_alu instid0(VALU_DEP_1) | instskip(NEXT) | instid1(VALU_DEP_1)
	v_fmac_f32_e32 v72, 0x3f167918, v70
	v_fmac_f32_e32 v72, 0x3e9e377a, v75
	;; [unrolled: 1-line block ×5, first 2 shown]
	v_add_f32_e32 v73, v60, v77
	s_delay_alu instid0(VALU_DEP_4) | instskip(SKIP_1) | instid1(VALU_DEP_4)
	v_fmac_f32_e32 v25, 0xbf167918, v70
	v_fmamk_f32 v70, v53, 0xbf737871, v76
	v_dual_add_f32 v65, v61, v65 :: v_dual_fmac_f32 v66, 0x3e9e377a, v74
	s_delay_alu instid0(VALU_DEP_2) | instskip(NEXT) | instid1(VALU_DEP_2)
	v_dual_sub_f32 v61, v54, v60 :: v_dual_fmac_f32 v70, 0xbf167918, v59
	v_add_f32_e32 v65, v63, v65
	v_add_f32_e32 v63, v62, v73
	;; [unrolled: 1-line block ×3, first 2 shown]
	v_sub_f32_e32 v54, v60, v54
	v_fmac_f32_e32 v71, 0x3e9e377a, v74
	v_sub_f32_e32 v74, v64, v62
	v_sub_f32_e32 v60, v62, v64
	v_add_f32_e32 v62, v45, v37
	s_delay_alu instid0(VALU_DEP_2) | instskip(NEXT) | instid1(VALU_DEP_2)
	v_dual_add_f32 v61, v74, v61 :: v_dual_add_f32 v54, v60, v54
	v_fma_f32 v60, -0.5, v62, v27
	s_wait_loadcnt 0x1
	v_sub_f32_e32 v62, v44, v42
	v_fmac_f32_e32 v76, 0x3f737871, v53
	v_fmac_f32_e32 v70, 0x3e9e377a, v61
	s_delay_alu instid0(VALU_DEP_2) | instskip(NEXT) | instid1(VALU_DEP_1)
	v_fmac_f32_e32 v76, 0x3f167918, v59
	v_fmac_f32_e32 v76, 0x3e9e377a, v61
	v_dual_fmac_f32 v26, -0.5, v73 :: v_dual_sub_f32 v61, v38, v46
	s_delay_alu instid0(VALU_DEP_1) | instskip(SKIP_1) | instid1(VALU_DEP_2)
	v_fmamk_f32 v74, v59, 0x3f737871, v26
	v_fmac_f32_e32 v26, 0xbf737871, v59
	v_dual_add_f32 v59, v43, v27 :: v_dual_fmac_f32 v74, 0xbf167918, v53
	s_delay_alu instid0(VALU_DEP_1) | instskip(SKIP_2) | instid1(VALU_DEP_4)
	v_dual_fmac_f32 v26, 0x3f167918, v53 :: v_dual_add_f32 v53, v37, v59
	v_fmamk_f32 v59, v62, 0x3f737871, v60
	v_fmac_f32_e32 v60, 0xbf737871, v62
	v_dual_fmac_f32 v74, 0x3e9e377a, v54 :: v_dual_add_f32 v73, v64, v63
	v_sub_f32_e32 v63, v43, v37
	v_dual_sub_f32 v64, v41, v45 :: v_dual_fmac_f32 v25, 0x3e9e377a, v75
	v_dual_fmac_f32 v26, 0x3e9e377a, v54 :: v_dual_add_f32 v75, v41, v43
	v_fmac_f32_e32 v59, 0x3f167918, v61
	s_delay_alu instid0(VALU_DEP_3) | instskip(SKIP_1) | instid1(VALU_DEP_2)
	v_dual_add_f32 v63, v64, v63 :: v_dual_fmac_f32 v60, 0xbf167918, v61
	v_dual_add_f32 v54, v46, v38 :: v_dual_add_f32 v53, v45, v53
	v_fmac_f32_e32 v59, 0x3e9e377a, v63
	s_delay_alu instid0(VALU_DEP_3) | instskip(NEXT) | instid1(VALU_DEP_3)
	v_fmac_f32_e32 v60, 0x3e9e377a, v63
	v_fma_f32 v54, -0.5, v54, v28
	s_delay_alu instid0(VALU_DEP_4)
	v_dual_fmac_f32 v27, -0.5, v75 :: v_dual_add_f32 v64, v41, v53
	v_sub_f32_e32 v75, v45, v41
	v_sub_f32_e32 v41, v43, v41
	;; [unrolled: 1-line block ×5, first 2 shown]
	s_delay_alu instid0(VALU_DEP_3) | instskip(SKIP_4) | instid1(VALU_DEP_3)
	v_add_f32_e32 v43, v75, v63
	v_fmamk_f32 v63, v41, 0xbf737871, v54
	v_fmac_f32_e32 v54, 0x3f737871, v41
	v_fmamk_f32 v53, v61, 0xbf737871, v27
	v_fmac_f32_e32 v27, 0x3f737871, v61
	v_dual_add_f32 v61, v44, v28 :: v_dual_fmac_f32 v54, 0x3f167918, v37
	s_delay_alu instid0(VALU_DEP_3) | instskip(NEXT) | instid1(VALU_DEP_3)
	v_fmac_f32_e32 v53, 0x3f167918, v62
	v_dual_fmac_f32 v27, 0xbf167918, v62 :: v_dual_add_f32 v62, v42, v44
	s_delay_alu instid0(VALU_DEP_1) | instskip(NEXT) | instid1(VALU_DEP_1)
	v_dual_fmac_f32 v27, 0x3e9e377a, v43 :: v_dual_fmac_f32 v28, -0.5, v62
	v_fmamk_f32 v62, v37, 0x3f737871, v28
	v_fmac_f32_e32 v28, 0xbf737871, v37
	s_delay_alu instid0(VALU_DEP_1) | instskip(SKIP_4) | instid1(VALU_DEP_2)
	v_fmac_f32_e32 v28, 0x3f167918, v41
	v_fmac_f32_e32 v53, 0x3e9e377a, v43
	v_add_f32_e32 v43, v38, v61
	v_sub_f32_e32 v61, v42, v46
	v_sub_f32_e32 v38, v38, v44
	v_dual_sub_f32 v44, v46, v42 :: v_dual_add_f32 v45, v61, v45
	s_delay_alu instid0(VALU_DEP_1) | instskip(SKIP_2) | instid1(VALU_DEP_4)
	v_add_f32_e32 v38, v44, v38
	v_mul_f32_e32 v44, 0x3f4f1bbd, v60
	v_fmac_f32_e32 v62, 0xbf167918, v41
	v_fmac_f32_e32 v54, 0x3e9e377a, v45
	v_mul_f32_e32 v80, 0xbf737871, v53
	v_fmac_f32_e32 v63, 0xbf167918, v37
	v_fmac_f32_e32 v28, 0x3e9e377a, v38
	;; [unrolled: 1-line block ×3, first 2 shown]
	v_fma_f32 v78, 0x3f167918, v54, -v44
	s_delay_alu instid0(VALU_DEP_2) | instskip(SKIP_1) | instid1(VALU_DEP_3)
	v_dual_fmac_f32 v80, 0x3e9e377a, v62 :: v_dual_add_f32 v41, v46, v43
	v_mul_f32_e32 v46, 0x3e9e377a, v53
	v_dual_mul_f32 v43, 0x3f4f1bbd, v59 :: v_dual_add_f32 v44, v66, v78
	v_mul_f32_e32 v37, 0x3e9e377a, v27
	s_delay_alu instid0(VALU_DEP_3) | instskip(NEXT) | instid1(VALU_DEP_2)
	v_dual_add_f32 v75, v42, v41 :: v_dual_fmac_f32 v46, 0x3f737871, v62
	v_fma_f32 v77, 0x3f737871, v28, -v37
	v_add_f32_e32 v37, v64, v65
	s_delay_alu instid0(VALU_DEP_3) | instskip(SKIP_4) | instid1(VALU_DEP_4)
	v_dual_sub_f32 v62, v72, v46 :: v_dual_fmac_f32 v63, 0x3e9e377a, v45
	v_mul_f32_e32 v45, 0x3f4f1bbd, v54
	v_dual_add_f32 v41, v72, v46 :: v_dual_mul_f32 v28, 0x3e9e377a, v28
	v_sub_f32_e32 v46, v18, v24
	v_add_f32_e32 v53, v74, v80
	v_fma_f32 v82, 0xbf167918, v60, -v45
	v_dual_sub_f32 v45, v65, v64 :: v_dual_sub_f32 v64, v66, v78
	v_fmac_f32_e32 v43, 0x3f167918, v63
	v_mul_f32_e32 v79, 0xbf167918, v59
	v_fma_f32 v81, 0xbf737871, v27, -v28
	v_sub_f32_e32 v66, v74, v80
	v_dual_sub_f32 v72, v20, v22 :: v_dual_add_f32 v27, v75, v73
	v_sub_f32_e32 v60, v73, v75
	v_sub_f32_e32 v74, v23, v21
	v_add_f32_e32 v38, v71, v43
	v_sub_f32_e32 v61, v71, v43
	v_add_f32_e32 v43, v21, v19
	v_add_f32_e32 v75, v23, v17
	v_dual_add_f32 v42, v25, v77 :: v_dual_fmac_f32 v79, 0x3f4f1bbd, v63
	v_sub_f32_e32 v63, v25, v77
	v_add_f32_e32 v25, v17, v5
	v_fma_f32 v43, -0.5, v43, v5
	v_sub_f32_e32 v73, v17, v19
	v_fmac_f32_e32 v5, -0.5, v75
	v_add_f32_e32 v28, v70, v79
	v_add_f32_e32 v54, v26, v81
	v_sub_f32_e32 v75, v19, v17
	s_delay_alu instid0(VALU_DEP_4) | instskip(SKIP_3) | instid1(VALU_DEP_4)
	v_dual_add_f32 v73, v74, v73 :: v_dual_fmamk_f32 v74, v72, 0xbf737871, v5
	v_dual_add_f32 v78, v22, v20 :: v_dual_sub_f32 v17, v17, v23
	v_dual_sub_f32 v65, v70, v79 :: v_dual_add_f32 v70, v19, v25
	v_dual_sub_f32 v25, v26, v81 :: v_dual_sub_f32 v26, v76, v82
	v_fmac_f32_e32 v74, 0x3f167918, v46
	v_dual_add_f32 v59, v76, v82 :: v_dual_sub_f32 v76, v21, v23
	v_fmac_f32_e32 v5, 0x3f737871, v72
	v_fmamk_f32 v71, v46, 0x3f737871, v43
	v_fmac_f32_e32 v43, 0xbf737871, v46
	v_sub_f32_e32 v19, v19, v21
	v_add_f32_e32 v75, v76, v75
	v_fma_f32 v76, -0.5, v78, v6
	v_fmac_f32_e32 v5, 0xbf167918, v46
	v_dual_add_f32 v70, v21, v70 :: v_dual_fmac_f32 v43, 0xbf167918, v72
	s_delay_alu instid0(VALU_DEP_3) | instskip(SKIP_1) | instid1(VALU_DEP_3)
	v_dual_sub_f32 v21, v18, v20 :: v_dual_fmamk_f32 v46, v17, 0xbf737871, v76
	v_fmac_f32_e32 v76, 0x3f737871, v17
	v_dual_fmac_f32 v71, 0x3f167918, v72 :: v_dual_add_f32 v70, v23, v70
	s_delay_alu instid0(VALU_DEP_3) | instskip(NEXT) | instid1(VALU_DEP_3)
	v_fmac_f32_e32 v46, 0xbf167918, v19
	v_dual_fmac_f32 v76, 0x3f167918, v19 :: v_dual_add_f32 v77, v18, v6
	s_delay_alu instid0(VALU_DEP_1) | instskip(NEXT) | instid1(VALU_DEP_1)
	v_add_f32_e32 v72, v20, v77
	v_dual_add_f32 v23, v22, v72 :: v_dual_add_f32 v72, v24, v18
	v_sub_f32_e32 v18, v20, v18
	v_sub_f32_e32 v20, v22, v24
	s_delay_alu instid0(VALU_DEP_3) | instskip(NEXT) | instid1(VALU_DEP_4)
	v_fmac_f32_e32 v6, -0.5, v72
	v_add_f32_e32 v72, v24, v23
	s_delay_alu instid0(VALU_DEP_3)
	v_dual_add_f32 v18, v20, v18 :: v_dual_fmac_f32 v71, 0x3e9e377a, v73
	v_fmac_f32_e32 v43, 0x3e9e377a, v73
	v_dual_sub_f32 v73, v24, v22 :: v_dual_add_f32 v22, v15, v11
	s_wait_loadcnt 0x0
	v_dual_add_f32 v20, v9, v7 :: v_dual_sub_f32 v23, v10, v14
	v_sub_f32_e32 v24, v9, v11
	s_delay_alu instid0(VALU_DEP_3) | instskip(SKIP_3) | instid1(VALU_DEP_4)
	v_add_f32_e32 v21, v73, v21
	v_fma_f32 v22, -0.5, v22, v7
	v_fmamk_f32 v73, v19, 0x3f737871, v6
	v_dual_fmac_f32 v6, 0xbf737871, v19 :: v_dual_add_f32 v19, v11, v20
	v_fmac_f32_e32 v46, 0x3e9e377a, v21
	v_fmac_f32_e32 v76, 0x3e9e377a, v21
	v_dual_fmamk_f32 v20, v23, 0x3f737871, v22 :: v_dual_sub_f32 v21, v12, v16
	v_fmac_f32_e32 v22, 0xbf737871, v23
	v_fmac_f32_e32 v74, 0x3e9e377a, v75
	s_delay_alu instid0(VALU_DEP_3) | instskip(SKIP_4) | instid1(VALU_DEP_4)
	v_dual_add_f32 v19, v15, v19 :: v_dual_fmac_f32 v20, 0x3f167918, v21
	v_fmac_f32_e32 v73, 0xbf167918, v17
	v_fmac_f32_e32 v6, 0x3f167918, v17
	;; [unrolled: 1-line block ×5, first 2 shown]
	s_delay_alu instid0(VALU_DEP_4)
	v_fmac_f32_e32 v6, 0x3e9e377a, v18
	v_sub_f32_e32 v18, v11, v9
	v_sub_f32_e32 v11, v11, v15
	v_add_f32_e32 v17, v13, v9
	v_sub_f32_e32 v9, v9, v13
	v_sub_f32_e32 v75, v13, v15
	v_add_f32_e32 v19, v13, v19
	s_delay_alu instid0(VALU_DEP_2) | instskip(SKIP_2) | instid1(VALU_DEP_3)
	v_dual_fmac_f32 v7, -0.5, v17 :: v_dual_add_f32 v24, v75, v24
	v_sub_f32_e32 v75, v15, v13
	v_add_f32_e32 v13, v14, v10
	v_fmamk_f32 v17, v21, 0xbf737871, v7
	v_sub_f32_e32 v15, v10, v12
	v_fmac_f32_e32 v22, 0x3e9e377a, v24
	v_fmac_f32_e32 v7, 0x3f737871, v21
	;; [unrolled: 1-line block ×4, first 2 shown]
	v_add_f32_e32 v21, v16, v12
	s_delay_alu instid0(VALU_DEP_4) | instskip(SKIP_1) | instid1(VALU_DEP_1)
	v_fmac_f32_e32 v7, 0xbf167918, v23
	v_dual_add_f32 v23, v10, v8 :: v_dual_sub_f32 v10, v12, v10
	v_add_f32_e32 v23, v12, v23
	v_sub_f32_e32 v12, v16, v14
	s_delay_alu instid0(VALU_DEP_1) | instskip(SKIP_3) | instid1(VALU_DEP_1)
	v_add_f32_e32 v10, v12, v10
	v_mul_f32_e32 v12, 0x3f4f1bbd, v22
	v_fma_f32 v21, -0.5, v21, v8
	v_fmac_f32_e32 v8, -0.5, v13
	v_fmamk_f32 v24, v11, 0x3f737871, v8
	v_fmac_f32_e32 v8, 0xbf737871, v11
	s_delay_alu instid0(VALU_DEP_2) | instskip(NEXT) | instid1(VALU_DEP_2)
	v_fmac_f32_e32 v24, 0xbf167918, v9
	v_fmac_f32_e32 v8, 0x3f167918, v9
	s_delay_alu instid0(VALU_DEP_2) | instskip(NEXT) | instid1(VALU_DEP_2)
	v_fmac_f32_e32 v24, 0x3e9e377a, v10
	v_fmac_f32_e32 v8, 0x3e9e377a, v10
	v_add_f32_e32 v18, v75, v18
	s_delay_alu instid0(VALU_DEP_1) | instskip(NEXT) | instid1(VALU_DEP_1)
	v_fmac_f32_e32 v17, 0x3e9e377a, v18
	v_mul_f32_e32 v80, 0xbf737871, v17
	s_delay_alu instid0(VALU_DEP_1) | instskip(NEXT) | instid1(VALU_DEP_1)
	v_dual_fmac_f32 v80, 0x3e9e377a, v24 :: v_dual_mul_f32 v77, 0x3e9e377a, v17
	v_fmac_f32_e32 v77, 0x3f737871, v24
	v_add_f32_e32 v13, v16, v23
	v_sub_f32_e32 v23, v14, v16
	s_delay_alu instid0(VALU_DEP_1)
	v_add_f32_e32 v15, v23, v15
	v_mul_f32_e32 v23, 0x3f4f1bbd, v20
	v_mul_f32_e32 v20, 0xbf167918, v20
	v_fmac_f32_e32 v7, 0x3e9e377a, v18
	v_fmamk_f32 v18, v9, 0xbf737871, v21
	v_fmac_f32_e32 v21, 0x3f737871, v9
	s_delay_alu instid0(VALU_DEP_3) | instskip(NEXT) | instid1(VALU_DEP_3)
	v_mul_f32_e32 v9, 0x3e9e377a, v7
	v_fmac_f32_e32 v18, 0xbf167918, v11
	s_delay_alu instid0(VALU_DEP_2) | instskip(SKIP_1) | instid1(VALU_DEP_3)
	v_fma_f32 v78, 0x3f737871, v8, -v9
	v_mul_f32_e32 v8, 0x3e9e377a, v8
	v_dual_fmac_f32 v18, 0x3e9e377a, v15 :: v_dual_add_f32 v9, v19, v70
	v_add_f32_e32 v17, v73, v80
	s_delay_alu instid0(VALU_DEP_3) | instskip(SKIP_4) | instid1(VALU_DEP_4)
	v_fma_f32 v81, 0xbf737871, v7, -v8
	v_dual_fmac_f32 v21, 0x3f167918, v11 :: v_dual_sub_f32 v8, v74, v77
	v_add_f32_e32 v75, v14, v13
	v_fmac_f32_e32 v23, 0x3f167918, v18
	v_add_f32_e32 v11, v74, v77
	v_fmac_f32_e32 v21, 0x3e9e377a, v15
	s_delay_alu instid0(VALU_DEP_4) | instskip(NEXT) | instid1(VALU_DEP_4)
	v_dual_fmac_f32 v20, 0x3f4f1bbd, v18 :: v_dual_add_f32 v15, v75, v72
	v_add_f32_e32 v10, v71, v23
	s_delay_alu instid0(VALU_DEP_3)
	v_dual_sub_f32 v7, v71, v23 :: v_dual_mul_f32 v14, 0x3f4f1bbd, v21
	v_fma_f32 v79, 0x3f167918, v21, -v12
	v_add_f32_e32 v12, v5, v78
	v_sub_f32_e32 v23, v5, v78
	v_lshlrev_b32_e32 v5, 2, v67
	v_fma_f32 v82, 0xbf167918, v22, -v14
	v_sub_f32_e32 v14, v70, v19
	v_mul_u32_u24_e32 v70, 10, v67
	v_add_nc_u32_e32 v19, 0, v0
	v_dual_add_f32 v13, v43, v79 :: v_dual_add_f32 v18, v6, v81
	v_sub_f32_e32 v24, v43, v79
	v_sub_f32_e32 v22, v72, v75
	s_delay_alu instid0(VALU_DEP_4)
	v_lshl_add_u32 v92, v70, 2, v19
	v_dual_sub_f32 v72, v6, v81 :: v_dual_add_nc_u32 v43, 5, v67
	v_add3_u32 v0, 0, v5, v0
	v_mov_b32_e32 v6, 0
	ds_store_2addr_b64 v92, v[47:48], v[49:50] offset1:1
	ds_store_2addr_b64 v92, v[51:52], v[57:58] offset0:2 offset1:3
	ds_store_2addr_b64 v92, v[37:38], v[41:42] offset0:25 offset1:26
	;; [unrolled: 1-line block ×4, first 2 shown]
	v_add_nc_u32_e32 v41, v19, v5
	v_lshl_add_u32 v42, v68, 2, v19
	v_dual_add_f32 v16, v46, v20 :: v_dual_add_f32 v21, v76, v82
	v_sub_f32_e32 v70, v46, v20
	ds_store_2addr_b64 v92, v[9:10], v[11:12] offset0:50 offset1:51
	ds_store_2addr_b64 v92, v[13:14], v[7:8] offset0:52 offset1:53
	ds_store_b64 v92, v[23:24] offset:432
	global_wb scope:SCOPE_SE
	s_wait_dscnt 0x0
	s_wait_kmcnt 0x0
	s_barrier_signal -1
	s_barrier_wait -1
	global_inv scope:SCOPE_SE
	ds_load_2addr_b32 v[7:8], v0 offset0:25 offset1:30
	ds_load_2addr_b32 v[61:62], v0 offset0:60 offset1:65
	v_sub_f32_e32 v71, v73, v80
	v_sub_f32_e32 v73, v76, v82
	ds_load_2addr_b32 v[63:64], v0 offset0:90 offset1:95
	ds_load_2addr_b32 v[74:75], v0 offset0:120 offset1:125
	;; [unrolled: 1-line block ×3, first 2 shown]
	ds_load_b32 v20, v41
	ds_load_b32 v93, v42
	ds_load_2addr_b32 v[78:79], v0 offset0:70 offset1:75
	ds_load_2addr_b32 v[80:81], v0 offset0:100 offset1:105
	;; [unrolled: 1-line block ×9, first 2 shown]
	v_lshlrev_b64_e32 v[13:14], 3, v[5:6]
	v_lshlrev_b32_e32 v5, 2, v43
	global_wb scope:SCOPE_SE
	s_wait_dscnt 0x0
	s_barrier_signal -1
	s_barrier_wait -1
	global_inv scope:SCOPE_SE
	ds_store_2addr_b64 v92, v[29:30], v[31:32] offset1:1
	ds_store_2addr_b64 v92, v[33:34], v[35:36] offset0:2 offset1:3
	ds_store_2addr_b64 v92, v[27:28], v[53:54] offset0:25 offset1:26
	ds_store_2addr_b64 v92, v[59:60], v[65:66] offset0:27 offset1:28
	ds_store_2addr_b64 v92, v[39:40], v[25:26] offset0:4 offset1:29
	ds_store_2addr_b64 v92, v[15:16], v[17:18] offset0:50 offset1:51
	ds_store_2addr_b64 v92, v[21:22], v[70:71] offset0:52 offset1:53
	ds_store_b64 v92, v[72:73] offset:432
	v_lshlrev_b64_e32 v[21:22], 3, v[5:6]
	v_add_co_u32 v17, s0, s8, v13
	s_wait_alu 0xf1ff
	v_add_co_ci_u32_e64 v18, s0, s9, v14, s0
	global_wb scope:SCOPE_SE
	s_wait_dscnt 0x0
	v_add_co_u32 v30, s0, s8, v21
	s_wait_alu 0xf1ff
	v_add_co_ci_u32_e64 v31, s0, s9, v22, s0
	s_barrier_signal -1
	s_barrier_wait -1
	global_inv scope:SCOPE_SE
	s_clause 0x3
	global_load_b128 v[13:16], v[17:18], off offset:16
	global_load_b128 v[22:25], v[30:31], off offset:16
	global_load_b128 v[26:29], v[17:18], off
	global_load_b128 v[30:33], v[30:31], off
	v_add_nc_u32_e32 v39, 20, v67
	v_add_nc_u32_e32 v40, 25, v67
	s_delay_alu instid0(VALU_DEP_1) | instskip(NEXT) | instid1(VALU_DEP_1)
	v_and_b32_e32 v17, 0xff, v40
	v_mul_lo_u16 v17, 0xcd, v17
	s_wait_loadcnt 0x3
	v_mul_f32_e32 v70, v63, v14
	s_wait_loadcnt 0x1
	v_mul_f32_e32 v102, v8, v27
	s_wait_loadcnt 0x0
	v_dual_mul_f32 v100, v79, v33 :: v_dual_and_b32 v5, 0xff, v39
	v_mul_f32_e32 v92, v82, v16
	v_mul_f32_e32 v96, v62, v33
	v_dual_mul_f32 v101, v78, v29 :: v_dual_mul_f32 v98, v76, v31
	s_delay_alu instid0(VALU_DEP_4) | instskip(SKIP_1) | instid1(VALU_DEP_2)
	v_mul_lo_u16 v5, 0xcd, v5
	v_mul_f32_e32 v99, v77, v31
	v_lshrrev_b16 v5, 11, v5
	s_delay_alu instid0(VALU_DEP_1) | instskip(NEXT) | instid1(VALU_DEP_1)
	v_mul_lo_u16 v5, v5, 10
	v_sub_nc_u16 v5, v39, v5
	s_delay_alu instid0(VALU_DEP_1) | instskip(SKIP_1) | instid1(VALU_DEP_2)
	v_and_b32_e32 v21, 0xff, v5
	v_lshrrev_b16 v5, 11, v17
	v_lshlrev_b32_e32 v17, 5, v21
	s_delay_alu instid0(VALU_DEP_2)
	v_mul_lo_u16 v5, v5, 10
	s_clause 0x1
	global_load_b128 v[35:38], v17, s[8:9]
	global_load_b128 v[44:47], v17, s[8:9] offset:16
	v_sub_nc_u16 v5, v40, v5
	v_mul_f32_e32 v73, v74, v16
	s_delay_alu instid0(VALU_DEP_2) | instskip(NEXT) | instid1(VALU_DEP_1)
	v_and_b32_e32 v5, 0xff, v5
	v_lshlrev_b32_e32 v17, 5, v5
	s_clause 0x1
	global_load_b128 v[48:51], v17, s[8:9]
	global_load_b128 v[55:58], v17, s[8:9] offset:16
	ds_load_2addr_b32 v[17:18], v0 offset0:90 offset1:95
	ds_load_2addr_b32 v[52:53], v0 offset0:120 offset1:125
	;; [unrolled: 1-line block ×4, first 2 shown]
	s_wait_dscnt 0x3
	v_mul_f32_e32 v34, v17, v14
	s_wait_dscnt 0x2
	v_mul_f32_e32 v54, v52, v16
	s_wait_dscnt 0x1
	v_dual_fmac_f32 v70, v17, v13 :: v_dual_mul_f32 v17, v59, v14
	s_wait_dscnt 0x0
	v_fmac_f32_e32 v92, v65, v15
	v_fma_f32 v71, v63, v13, -v34
	v_fma_f32 v72, v74, v15, -v54
	v_mul_f32_e32 v74, v80, v14
	v_fma_f32 v80, v80, v13, -v17
	v_dual_mul_f32 v14, v65, v16 :: v_dual_mul_f32 v65, v64, v23
	s_delay_alu instid0(VALU_DEP_3) | instskip(SKIP_2) | instid1(VALU_DEP_4)
	v_dual_fmac_f32 v73, v52, v15 :: v_dual_fmac_f32 v74, v59, v13
	v_mul_f32_e32 v13, v18, v23
	v_mul_f32_e32 v59, v81, v23
	v_fma_f32 v82, v82, v15, -v14
	ds_load_2addr_b32 v[15:16], v0 offset0:60 offset1:65
	v_fmac_f32_e32 v65, v18, v22
	v_fma_f32 v94, v64, v22, -v13
	v_mul_f32_e32 v13, v53, v25
	v_fmac_f32_e32 v59, v60, v22
	ds_load_2addr_b32 v[17:18], v0 offset0:35 offset1:45
	v_mul_f32_e32 v34, v66, v25
	v_fma_f32 v95, v75, v24, -v13
	v_mul_f32_e32 v13, v60, v23
	v_mul_f32_e32 v75, v75, v25
	;; [unrolled: 1-line block ×3, first 2 shown]
	v_fma_f32 v83, v83, v24, -v34
	s_delay_alu instid0(VALU_DEP_4)
	v_fma_f32 v81, v81, v22, -v13
	ds_load_2addr_b32 v[22:23], v0 offset0:70 offset1:75
	ds_load_2addr_b32 v[13:14], v0 offset0:25 offset1:30
	v_fmac_f32_e32 v75, v53, v24
	v_fmac_f32_e32 v60, v66, v24
	ds_load_b32 v52, v42
	ds_load_2addr_b32 v[24:25], v0 offset0:50 offset1:55
	s_wait_dscnt 0x5
	v_mul_f32_e32 v34, v15, v29
	v_mul_f32_e32 v54, v16, v33
	v_fmac_f32_e32 v96, v16, v32
	ds_load_2addr_b32 v[63:64], v0 offset0:140 offset1:145
	v_fma_f32 v66, v61, v28, -v34
	s_wait_dscnt 0x5
	v_dual_mul_f32 v53, v61, v29 :: v_dual_mul_f32 v34, v18, v31
	v_fmac_f32_e32 v98, v17, v30
	v_fmac_f32_e32 v99, v18, v30
	v_fma_f32 v97, v62, v32, -v54
	ds_load_2addr_b32 v[61:62], v0 offset0:110 offset1:115
	v_fma_f32 v77, v77, v30, -v34
	s_wait_dscnt 0x5
	v_mul_f32_e32 v16, v22, v29
	s_wait_dscnt 0x4
	v_fmac_f32_e32 v102, v14, v26
	v_fmac_f32_e32 v100, v23, v32
	;; [unrolled: 1-line block ×3, first 2 shown]
	v_fma_f32 v78, v78, v28, -v16
	v_mul_f32_e32 v16, v14, v27
	s_delay_alu instid0(VALU_DEP_1)
	v_fma_f32 v104, v8, v26, -v16
	v_fmac_f32_e32 v53, v15, v28
	v_mul_f32_e32 v15, v17, v31
	ds_load_2addr_b32 v[17:18], v0 offset0:5 offset1:10
	v_add_f32_e32 v28, v20, v104
	v_fma_f32 v76, v76, v30, -v15
	ds_load_2addr_b32 v[30:31], v0 offset0:80 offset1:85
	v_mul_f32_e32 v15, v23, v33
	s_delay_alu instid0(VALU_DEP_1) | instskip(SKIP_2) | instid1(VALU_DEP_1)
	v_fma_f32 v79, v79, v32, -v15
	s_wait_dscnt 0x5
	v_mul_f32_e32 v15, v52, v27
	v_fma_f32 v103, v93, v26, -v15
	s_wait_loadcnt_dscnt 0x300
	v_mul_f32_e32 v14, v30, v38
	v_mul_f32_e32 v8, v24, v36
	v_dual_mul_f32 v32, v84, v36 :: v_dual_mul_f32 v33, v86, v38
	s_wait_loadcnt 0x2
	v_mul_f32_e32 v34, v88, v45
	v_fma_f32 v36, v86, v37, -v14
	v_mul_f32_e32 v14, v63, v47
	v_dual_fmac_f32 v32, v24, v35 :: v_dual_fmac_f32 v33, v30, v37
	s_delay_alu instid0(VALU_DEP_4) | instskip(NEXT) | instid1(VALU_DEP_3)
	v_dual_sub_f32 v37, v102, v73 :: v_dual_fmac_f32 v34, v61, v44
	v_fma_f32 v54, v90, v46, -v14
	v_lshl_add_u32 v5, v5, 2, v19
	s_wait_loadcnt 0x0
	v_dual_mul_f32 v14, v31, v51 :: v_dual_mul_f32 v23, v62, v56
	v_dual_mul_f32 v22, v87, v51 :: v_dual_mul_f32 v15, v25, v49
	s_delay_alu instid0(VALU_DEP_2) | instskip(SKIP_1) | instid1(VALU_DEP_4)
	v_fma_f32 v24, v87, v50, -v14
	v_add_f32_e32 v14, v66, v71
	v_fma_f32 v30, v89, v55, -v23
	s_delay_alu instid0(VALU_DEP_4) | instskip(NEXT) | instid1(VALU_DEP_3)
	v_fmac_f32_e32 v22, v31, v50
	v_fma_f32 v14, -0.5, v14, v20
	s_delay_alu instid0(VALU_DEP_1) | instskip(SKIP_2) | instid1(VALU_DEP_2)
	v_fmamk_f32 v23, v37, 0x3f737871, v14
	v_dual_fmac_f32 v14, 0xbf737871, v37 :: v_dual_mul_f32 v93, v93, v27
	v_mul_f32_e32 v27, v64, v58
	v_fmac_f32_e32 v93, v52, v26
	v_fma_f32 v52, v84, v35, -v8
	v_mul_f32_e32 v8, v61, v45
	ds_load_b32 v45, v41
	v_fma_f32 v31, v91, v57, -v27
	v_add_f32_e32 v27, v28, v66
	v_sub_f32_e32 v28, v104, v66
	v_fma_f32 v38, v88, v44, -v8
	v_mul_f32_e32 v8, v85, v49
	v_sub_f32_e32 v44, v53, v70
	v_fma_f32 v26, v85, v48, -v15
	v_dual_add_f32 v50, v53, v70 :: v_dual_add_f32 v61, v76, v95
	s_delay_alu instid0(VALU_DEP_4) | instskip(NEXT) | instid1(VALU_DEP_4)
	v_fmac_f32_e32 v8, v25, v48
	v_fmac_f32_e32 v14, 0xbf167918, v44
	v_add_f32_e32 v84, v77, v83
	ds_load_2addr_b32 v[15:16], v0 offset0:15 offset1:20
	v_add_f32_e32 v86, v52, v54
	global_wb scope:SCOPE_SE
	s_wait_dscnt 0x0
	s_barrier_signal -1
	s_barrier_wait -1
	global_inv scope:SCOPE_SE
	v_add_f32_e32 v49, v45, v102
	v_mul_f32_e32 v35, v90, v47
	v_add_f32_e32 v47, v104, v72
	s_delay_alu instid0(VALU_DEP_2) | instskip(NEXT) | instid1(VALU_DEP_2)
	v_dual_fmac_f32 v35, v63, v46 :: v_dual_sub_f32 v46, v72, v71
	v_dual_fmac_f32 v20, -0.5, v47 :: v_dual_sub_f32 v47, v71, v72
	s_delay_alu instid0(VALU_DEP_2) | instskip(SKIP_1) | instid1(VALU_DEP_3)
	v_add_f32_e32 v48, v28, v46
	v_sub_f32_e32 v46, v66, v104
	v_fmamk_f32 v28, v44, 0xbf737871, v20
	v_fmac_f32_e32 v20, 0x3f737871, v44
	v_mul_f32_e32 v25, v89, v56
	s_delay_alu instid0(VALU_DEP_4)
	v_dual_sub_f32 v56, v73, v70 :: v_dual_add_f32 v51, v46, v47
	v_fma_f32 v46, -0.5, v50, v45
	v_sub_f32_e32 v50, v104, v72
	v_fmac_f32_e32 v28, 0x3f167918, v37
	v_fmac_f32_e32 v20, 0xbf167918, v37
	;; [unrolled: 1-line block ×3, first 2 shown]
	s_delay_alu instid0(VALU_DEP_4)
	v_fmamk_f32 v47, v50, 0xbf737871, v46
	v_fmac_f32_e32 v46, 0x3f737871, v50
	v_dual_fmac_f32 v23, 0x3f167918, v44 :: v_dual_add_f32 v44, v49, v53
	v_sub_f32_e32 v49, v102, v53
	v_mul_f32_e32 v29, v91, v58
	v_sub_f32_e32 v58, v95, v94
	s_delay_alu instid0(VALU_DEP_4) | instskip(SKIP_3) | instid1(VALU_DEP_4)
	v_dual_add_f32 v37, v44, v70 :: v_dual_add_f32 v44, v102, v73
	v_fmac_f32_e32 v25, v62, v55
	v_dual_sub_f32 v55, v66, v71 :: v_dual_add_f32 v62, v96, v65
	v_sub_f32_e32 v66, v93, v92
	v_fmac_f32_e32 v45, -0.5, v44
	v_add_f32_e32 v44, v49, v56
	s_delay_alu instid0(VALU_DEP_4) | instskip(SKIP_1) | instid1(VALU_DEP_4)
	v_dual_add_f32 v56, v11, v76 :: v_dual_fmac_f32 v47, 0xbf167918, v55
	v_fmac_f32_e32 v46, 0x3f167918, v55
	v_fmamk_f32 v49, v55, 0x3f737871, v45
	v_fmac_f32_e32 v45, 0xbf737871, v55
	s_delay_alu instid0(VALU_DEP_4)
	v_add_f32_e32 v55, v56, v97
	v_fmac_f32_e32 v29, v64, v57
	v_sub_f32_e32 v57, v76, v97
	v_fmac_f32_e32 v49, 0xbf167918, v50
	v_fmac_f32_e32 v45, 0x3f167918, v50
	v_dual_add_f32 v50, v55, v94 :: v_dual_fmac_f32 v23, 0x3e9e377a, v48
	v_sub_f32_e32 v56, v96, v65
	v_fmac_f32_e32 v28, 0x3e9e377a, v51
	v_dual_fmac_f32 v20, 0x3e9e377a, v51 :: v_dual_sub_f32 v51, v70, v73
	v_add_f32_e32 v55, v57, v58
	v_dual_add_f32 v57, v50, v95 :: v_dual_sub_f32 v50, v97, v76
	v_add_f32_e32 v48, v37, v73
	v_dual_sub_f32 v37, v53, v102 :: v_dual_sub_f32 v64, v75, v65
	v_dual_add_f32 v27, v27, v71 :: v_dual_fmac_f32 v46, 0x3e9e377a, v44
	s_delay_alu instid0(VALU_DEP_2) | instskip(SKIP_2) | instid1(VALU_DEP_3)
	v_dual_sub_f32 v70, v103, v78 :: v_dual_add_f32 v51, v37, v51
	v_sub_f32_e32 v71, v82, v80
	v_add_f32_e32 v73, v101, v74
	v_fmac_f32_e32 v49, 0x3e9e377a, v51
	v_fmac_f32_e32 v45, 0x3e9e377a, v51
	v_sub_f32_e32 v51, v94, v95
	s_delay_alu instid0(VALU_DEP_1) | instskip(SKIP_3) | instid1(VALU_DEP_2)
	v_add_f32_e32 v63, v50, v51
	v_fma_f32 v50, -0.5, v62, v17
	v_add_f32_e32 v53, v97, v94
	v_dual_sub_f32 v62, v97, v94 :: v_dual_fmac_f32 v47, 0x3e9e377a, v44
	v_fma_f32 v37, -0.5, v53, v11
	v_sub_f32_e32 v53, v98, v75
	v_add_f32_e32 v27, v27, v72
	v_fma_f32 v11, -0.5, v61, v11
	v_add_f32_e32 v61, v17, v98
	v_add_f32_e32 v72, v103, v82
	v_fmamk_f32 v44, v53, 0x3f737871, v37
	v_fmac_f32_e32 v37, 0xbf737871, v53
	s_delay_alu instid0(VALU_DEP_4) | instskip(NEXT) | instid1(VALU_DEP_3)
	v_dual_fmamk_f32 v58, v56, 0xbf737871, v11 :: v_dual_add_f32 v51, v61, v96
	v_dual_sub_f32 v61, v76, v95 :: v_dual_fmac_f32 v44, 0x3f167918, v56
	s_delay_alu instid0(VALU_DEP_3)
	v_fmac_f32_e32 v37, 0xbf167918, v56
	v_fmac_f32_e32 v11, 0x3f737871, v56
	v_sub_f32_e32 v56, v98, v96
	v_sub_f32_e32 v76, v92, v74
	v_fmac_f32_e32 v44, 0x3e9e377a, v55
	v_fmac_f32_e32 v37, 0x3e9e377a, v55
	v_add_f32_e32 v55, v51, v65
	v_fmamk_f32 v51, v61, 0xbf737871, v50
	v_fmac_f32_e32 v50, 0x3f737871, v61
	s_delay_alu instid0(VALU_DEP_2) | instskip(NEXT) | instid1(VALU_DEP_2)
	v_fmac_f32_e32 v51, 0xbf167918, v62
	v_fmac_f32_e32 v50, 0x3f167918, v62
	v_fmac_f32_e32 v58, 0x3f167918, v53
	v_fmac_f32_e32 v11, 0xbf167918, v53
	v_add_f32_e32 v53, v98, v75
	s_delay_alu instid0(VALU_DEP_3) | instskip(NEXT) | instid1(VALU_DEP_3)
	v_fmac_f32_e32 v58, 0x3e9e377a, v63
	v_fmac_f32_e32 v11, 0x3e9e377a, v63
	s_delay_alu instid0(VALU_DEP_3) | instskip(SKIP_3) | instid1(VALU_DEP_4)
	v_fma_f32 v53, -0.5, v53, v17
	v_add_f32_e32 v17, v56, v64
	v_dual_sub_f32 v63, v96, v98 :: v_dual_sub_f32 v64, v65, v75
	v_add_f32_e32 v65, v78, v80
	v_fmamk_f32 v56, v62, 0x3f737871, v53
	v_fmac_f32_e32 v53, 0xbf737871, v62
	v_fmac_f32_e32 v51, 0x3e9e377a, v17
	v_dual_add_f32 v63, v63, v64 :: v_dual_add_f32 v64, v12, v103
	s_delay_alu instid0(VALU_DEP_4)
	v_fmac_f32_e32 v56, 0xbf167918, v61
	v_fma_f32 v65, -0.5, v65, v12
	v_fmac_f32_e32 v50, 0x3e9e377a, v17
	v_fmac_f32_e32 v53, 0x3f167918, v61
	v_add_f32_e32 v17, v64, v78
	v_sub_f32_e32 v64, v101, v74
	v_fmac_f32_e32 v12, -0.5, v72
	v_fmac_f32_e32 v56, 0x3e9e377a, v63
	v_fmamk_f32 v62, v66, 0x3f737871, v65
	v_fmac_f32_e32 v53, 0x3e9e377a, v63
	v_fmac_f32_e32 v65, 0xbf737871, v66
	v_dual_fmamk_f32 v63, v64, 0xbf737871, v12 :: v_dual_add_f32 v72, v18, v93
	v_fmac_f32_e32 v12, 0x3f737871, v64
	v_fmac_f32_e32 v62, 0x3f167918, v64
	s_delay_alu instid0(VALU_DEP_4) | instskip(NEXT) | instid1(VALU_DEP_4)
	v_fmac_f32_e32 v65, 0xbf167918, v64
	v_dual_fmac_f32 v63, 0x3f167918, v66 :: v_dual_add_f32 v64, v72, v101
	v_dual_sub_f32 v72, v103, v82 :: v_dual_add_f32 v61, v70, v71
	v_dual_sub_f32 v70, v78, v103 :: v_dual_sub_f32 v71, v80, v82
	v_fmac_f32_e32 v12, 0xbf167918, v66
	v_add_f32_e32 v66, v93, v92
	s_delay_alu instid0(VALU_DEP_3) | instskip(SKIP_1) | instid1(VALU_DEP_3)
	v_add_f32_e32 v70, v70, v71
	v_fma_f32 v71, -0.5, v73, v18
	v_dual_sub_f32 v73, v78, v80 :: v_dual_fmac_f32 v18, -0.5, v66
	s_delay_alu instid0(VALU_DEP_3)
	v_dual_sub_f32 v78, v99, v60 :: v_dual_fmac_f32 v63, 0x3e9e377a, v70
	v_fmac_f32_e32 v12, 0x3e9e377a, v70
	ds_store_2addr_b32 v0, v27, v57 offset1:5
	ds_store_2addr_b32 v0, v23, v44 offset0:10 offset1:15
	ds_store_2addr_b32 v0, v28, v58 offset0:20 offset1:25
	;; [unrolled: 1-line block ×3, first 2 shown]
	v_fmamk_f32 v70, v73, 0x3f737871, v18
	v_fmac_f32_e32 v18, 0xbf737871, v73
	v_lshl_add_u32 v58, v21, 2, v19
	v_lshl_add_u32 v57, v69, 2, v19
	s_delay_alu instid0(VALU_DEP_4) | instskip(NEXT) | instid1(VALU_DEP_4)
	v_fmac_f32_e32 v70, 0xbf167918, v72
	v_fmac_f32_e32 v18, 0x3f167918, v72
	;; [unrolled: 1-line block ×4, first 2 shown]
	v_add_f32_e32 v61, v64, v74
	v_dual_fmamk_f32 v64, v72, 0xbf737871, v71 :: v_dual_add_f32 v55, v55, v75
	v_sub_f32_e32 v75, v93, v101
	v_fmac_f32_e32 v71, 0x3f737871, v72
	v_sub_f32_e32 v74, v74, v92
	s_delay_alu instid0(VALU_DEP_4) | instskip(NEXT) | instid1(VALU_DEP_4)
	v_dual_fmac_f32 v64, 0xbf167918, v73 :: v_dual_add_f32 v17, v17, v80
	v_dual_add_f32 v66, v75, v76 :: v_dual_sub_f32 v75, v101, v93
	s_delay_alu instid0(VALU_DEP_4) | instskip(SKIP_2) | instid1(VALU_DEP_4)
	v_fmac_f32_e32 v71, 0x3f167918, v73
	v_add_f32_e32 v76, v79, v81
	v_sub_f32_e32 v80, v77, v79
	v_fmac_f32_e32 v64, 0x3e9e377a, v66
	v_dual_add_f32 v74, v75, v74 :: v_dual_add_f32 v75, v9, v77
	v_fmac_f32_e32 v71, 0x3e9e377a, v66
	v_fma_f32 v76, -0.5, v76, v9
	v_fma_f32 v9, -0.5, v84, v9
	s_delay_alu instid0(VALU_DEP_4)
	v_fmac_f32_e32 v70, 0x3e9e377a, v74
	v_add_f32_e32 v66, v75, v79
	v_fmac_f32_e32 v18, 0x3e9e377a, v74
	v_fmamk_f32 v73, v78, 0x3f737871, v76
	v_fmac_f32_e32 v76, 0xbf737871, v78
	v_add_f32_e32 v84, v15, v99
	v_dual_add_f32 v66, v66, v81 :: v_dual_add_f32 v17, v17, v82
	v_sub_f32_e32 v82, v83, v81
	s_delay_alu instid0(VALU_DEP_2)
	v_add_f32_e32 v66, v66, v83
	ds_store_2addr_b32 v0, v14, v37 offset0:40 offset1:45
	ds_store_b32 v0, v17 offset:200
	ds_store_b32 v0, v62 offset:240
	;; [unrolled: 1-line block ×3, first 2 shown]
	ds_store_b32 v57, v12
	v_add_f32_e32 v72, v80, v82
	v_dual_sub_f32 v80, v79, v77 :: v_dual_sub_f32 v77, v77, v83
	v_sub_f32_e32 v75, v100, v59
	v_dual_sub_f32 v82, v81, v83 :: v_dual_sub_f32 v79, v79, v81
	s_delay_alu instid0(VALU_DEP_2)
	v_dual_sub_f32 v83, v60, v59 :: v_dual_fmamk_f32 v74, v75, 0xbf737871, v9
	v_fmac_f32_e32 v9, 0x3f737871, v75
	v_fmac_f32_e32 v73, 0x3f167918, v75
	v_dual_fmac_f32 v76, 0xbf167918, v75 :: v_dual_add_f32 v61, v61, v92
	v_add_f32_e32 v80, v80, v82
	v_fmac_f32_e32 v74, 0x3f167918, v78
	v_dual_fmac_f32 v9, 0xbf167918, v78 :: v_dual_add_f32 v78, v99, v60
	v_add_f32_e32 v75, v84, v100
	v_fmac_f32_e32 v76, 0x3e9e377a, v72
	s_delay_alu instid0(VALU_DEP_4) | instskip(NEXT) | instid1(VALU_DEP_4)
	v_fmac_f32_e32 v74, 0x3e9e377a, v80
	v_fmac_f32_e32 v9, 0x3e9e377a, v80
	v_fma_f32 v78, -0.5, v78, v15
	v_add_f32_e32 v85, v100, v59
	v_sub_f32_e32 v81, v99, v100
	v_sub_f32_e32 v84, v52, v36
	s_delay_alu instid0(VALU_DEP_4) | instskip(NEXT) | instid1(VALU_DEP_4)
	v_fmamk_f32 v80, v79, 0x3f737871, v78
	v_fma_f32 v82, -0.5, v85, v15
	s_delay_alu instid0(VALU_DEP_4) | instskip(SKIP_4) | instid1(VALU_DEP_4)
	v_add_f32_e32 v15, v81, v83
	v_dual_fmac_f32 v73, 0x3e9e377a, v72 :: v_dual_add_f32 v72, v75, v59
	v_sub_f32_e32 v81, v100, v99
	v_sub_f32_e32 v83, v32, v35
	;; [unrolled: 1-line block ×3, first 2 shown]
	v_dual_sub_f32 v85, v54, v38 :: v_dual_add_f32 v72, v72, v60
	s_delay_alu instid0(VALU_DEP_2) | instskip(SKIP_1) | instid1(VALU_DEP_2)
	v_dual_add_f32 v60, v36, v38 :: v_dual_add_f32 v59, v81, v59
	v_add_f32_e32 v81, v10, v52
	v_fma_f32 v60, -0.5, v60, v10
	v_fmac_f32_e32 v10, -0.5, v86
	v_fmac_f32_e32 v80, 0xbf167918, v77
	v_fmamk_f32 v75, v77, 0xbf737871, v82
	v_fmac_f32_e32 v82, 0x3f737871, v77
	v_add_f32_e32 v86, v16, v32
	s_delay_alu instid0(VALU_DEP_4) | instskip(SKIP_1) | instid1(VALU_DEP_4)
	v_fmac_f32_e32 v80, 0x3e9e377a, v59
	v_fmac_f32_e32 v78, 0xbf737871, v79
	;; [unrolled: 1-line block ×3, first 2 shown]
	s_delay_alu instid0(VALU_DEP_2) | instskip(SKIP_2) | instid1(VALU_DEP_4)
	v_fmac_f32_e32 v78, 0x3f167918, v77
	v_add_f32_e32 v77, v84, v85
	v_dual_sub_f32 v84, v36, v52 :: v_dual_fmac_f32 v75, 0xbf167918, v79
	v_fmac_f32_e32 v82, 0x3e9e377a, v15
	v_fmamk_f32 v79, v83, 0x3f737871, v60
	v_dual_fmac_f32 v60, 0xbf737871, v83 :: v_dual_sub_f32 v85, v38, v54
	s_delay_alu instid0(VALU_DEP_4) | instskip(SKIP_4) | instid1(VALU_DEP_4)
	v_dual_fmac_f32 v75, 0x3e9e377a, v15 :: v_dual_sub_f32 v52, v52, v54
	v_add_f32_e32 v15, v81, v36
	v_dual_sub_f32 v81, v33, v34 :: v_dual_fmac_f32 v78, 0x3e9e377a, v59
	v_sub_f32_e32 v36, v36, v38
	v_add_f32_e32 v87, v33, v34
	v_dual_add_f32 v15, v15, v38 :: v_dual_sub_f32 v38, v32, v33
	s_delay_alu instid0(VALU_DEP_4)
	v_fmac_f32_e32 v79, 0x3f167918, v81
	v_fmamk_f32 v59, v81, 0xbf737871, v10
	v_fmac_f32_e32 v60, 0xbf167918, v81
	v_fmac_f32_e32 v10, 0x3f737871, v81
	v_add_f32_e32 v81, v86, v33
	v_dual_add_f32 v15, v15, v54 :: v_dual_add_f32 v84, v84, v85
	v_fma_f32 v85, -0.5, v87, v16
	ds_store_b32 v0, v66 offset:220
	ds_store_b32 v0, v73 offset:260
	ds_store_2addr_b32 v0, v74, v9 offset0:75 offset1:85
	v_dual_add_f32 v54, v81, v34 :: v_dual_add_f32 v81, v32, v35
	v_dual_sub_f32 v32, v33, v32 :: v_dual_sub_f32 v33, v34, v35
	v_fmac_f32_e32 v10, 0xbf167918, v83
	s_delay_alu instid0(VALU_DEP_3) | instskip(NEXT) | instid1(VALU_DEP_4)
	v_add_f32_e32 v54, v54, v35
	v_fmac_f32_e32 v16, -0.5, v81
	s_delay_alu instid0(VALU_DEP_4) | instskip(SKIP_2) | instid1(VALU_DEP_4)
	v_dual_add_f32 v32, v32, v33 :: v_dual_fmac_f32 v59, 0x3f167918, v83
	v_sub_f32_e32 v83, v35, v34
	v_add_f32_e32 v33, v7, v26
	v_fmamk_f32 v81, v36, 0x3f737871, v16
	v_fmac_f32_e32 v16, 0xbf737871, v36
	v_add_f32_e32 v34, v24, v30
	v_dual_add_f32 v38, v38, v83 :: v_dual_fmac_f32 v79, 0x3e9e377a, v77
	v_fmac_f32_e32 v60, 0x3e9e377a, v77
	v_fmamk_f32 v77, v52, 0xbf737871, v85
	v_add_f32_e32 v33, v33, v24
	v_fmac_f32_e32 v81, 0xbf167918, v52
	v_dual_fmac_f32 v16, 0x3f167918, v52 :: v_dual_sub_f32 v83, v31, v30
	v_fma_f32 v34, -0.5, v34, v7
	s_delay_alu instid0(VALU_DEP_4)
	v_add_f32_e32 v33, v33, v30
	v_fmac_f32_e32 v85, 0x3f737871, v52
	v_sub_f32_e32 v52, v26, v24
	v_fmac_f32_e32 v77, 0xbf167918, v36
	v_fmac_f32_e32 v81, 0x3e9e377a, v32
	;; [unrolled: 1-line block ×3, first 2 shown]
	v_dual_add_f32 v32, v33, v31 :: v_dual_fmac_f32 v85, 0x3f167918, v36
	s_delay_alu instid0(VALU_DEP_4) | instskip(SKIP_1) | instid1(VALU_DEP_3)
	v_dual_add_f32 v52, v52, v83 :: v_dual_fmac_f32 v77, 0x3e9e377a, v38
	v_dual_sub_f32 v35, v8, v29 :: v_dual_fmac_f32 v10, 0x3e9e377a, v84
	v_dual_fmac_f32 v85, 0x3e9e377a, v38 :: v_dual_sub_f32 v38, v22, v25
	v_dual_fmac_f32 v59, 0x3e9e377a, v84 :: v_dual_add_f32 v84, v26, v31
	s_delay_alu instid0(VALU_DEP_3) | instskip(SKIP_3) | instid1(VALU_DEP_4)
	v_fmamk_f32 v36, v35, 0x3f737871, v34
	v_dual_fmac_f32 v34, 0xbf737871, v35 :: v_dual_sub_f32 v83, v24, v26
	v_sub_f32_e32 v26, v26, v31
	v_sub_f32_e32 v24, v24, v30
	v_fmac_f32_e32 v36, 0x3f167918, v38
	s_delay_alu instid0(VALU_DEP_4) | instskip(NEXT) | instid1(VALU_DEP_2)
	v_fmac_f32_e32 v34, 0xbf167918, v38
	v_fmac_f32_e32 v36, 0x3e9e377a, v52
	s_delay_alu instid0(VALU_DEP_2) | instskip(SKIP_1) | instid1(VALU_DEP_1)
	v_fmac_f32_e32 v34, 0x3e9e377a, v52
	v_add_f32_e32 v52, v22, v25
	v_fma_f32 v52, -0.5, v52, v13
	v_dual_fmac_f32 v7, -0.5, v84 :: v_dual_sub_f32 v84, v30, v31
	s_delay_alu instid0(VALU_DEP_1) | instskip(NEXT) | instid1(VALU_DEP_3)
	v_add_f32_e32 v31, v83, v84
	v_fmamk_f32 v83, v26, 0xbf737871, v52
	v_fmac_f32_e32 v52, 0x3f737871, v26
	s_delay_alu instid0(VALU_DEP_4) | instskip(SKIP_1) | instid1(VALU_DEP_4)
	v_fmamk_f32 v33, v38, 0xbf737871, v7
	v_dual_fmac_f32 v7, 0x3f737871, v38 :: v_dual_add_f32 v38, v13, v8
	v_fmac_f32_e32 v83, 0xbf167918, v24
	s_delay_alu instid0(VALU_DEP_3) | instskip(NEXT) | instid1(VALU_DEP_3)
	v_dual_fmac_f32 v52, 0x3f167918, v24 :: v_dual_fmac_f32 v33, 0x3f167918, v35
	v_fmac_f32_e32 v7, 0xbf167918, v35
	s_delay_alu instid0(VALU_DEP_4) | instskip(NEXT) | instid1(VALU_DEP_1)
	v_dual_add_f32 v35, v38, v22 :: v_dual_add_f32 v38, v8, v29
	v_dual_add_f32 v30, v35, v25 :: v_dual_fmac_f32 v13, -0.5, v38
	v_sub_f32_e32 v35, v29, v25
	s_delay_alu instid0(VALU_DEP_2) | instskip(NEXT) | instid1(VALU_DEP_3)
	v_add_f32_e32 v86, v30, v29
	v_fmamk_f32 v84, v24, 0x3f737871, v13
	v_fmac_f32_e32 v13, 0xbf737871, v24
	s_delay_alu instid0(VALU_DEP_2) | instskip(SKIP_4) | instid1(VALU_DEP_1)
	v_fmac_f32_e32 v84, 0xbf167918, v26
	v_fmac_f32_e32 v33, 0x3e9e377a, v31
	;; [unrolled: 1-line block ×3, first 2 shown]
	v_dual_sub_f32 v31, v8, v22 :: v_dual_sub_f32 v8, v22, v8
	v_dual_sub_f32 v22, v25, v29 :: v_dual_fmac_f32 v13, 0x3f167918, v26
	v_dual_add_f32 v25, v31, v35 :: v_dual_add_f32 v8, v8, v22
	s_delay_alu instid0(VALU_DEP_1) | instskip(SKIP_1) | instid1(VALU_DEP_3)
	v_fmac_f32_e32 v83, 0x3e9e377a, v25
	v_fmac_f32_e32 v52, 0x3e9e377a, v25
	;; [unrolled: 1-line block ×4, first 2 shown]
	ds_store_2addr_b32 v0, v65, v76 offset0:90 offset1:95
	ds_store_2addr_b32 v58, v15, v79 offset0:100 offset1:110
	;; [unrolled: 1-line block ×3, first 2 shown]
	ds_store_b32 v58, v60 offset:560
	ds_store_2addr_b32 v5, v32, v36 offset0:100 offset1:110
	ds_store_2addr_b32 v5, v33, v7 offset0:120 offset1:130
	ds_store_b32 v5, v34 offset:560
	global_wb scope:SCOPE_SE
	s_wait_dscnt 0x0
	s_barrier_signal -1
	s_barrier_wait -1
	global_inv scope:SCOPE_SE
	ds_load_2addr_b32 v[21:22], v0 offset0:50 offset1:55
	ds_load_2addr_b32 v[19:20], v0 offset0:100 offset1:105
	;; [unrolled: 1-line block ×12, first 2 shown]
	ds_load_b32 v17, v41
	ds_load_b32 v44, v42
	ds_load_2addr_b32 v[37:38], v0 offset0:90 offset1:95
	ds_load_2addr_b32 v[35:36], v0 offset0:140 offset1:145
	global_wb scope:SCOPE_SE
	s_wait_dscnt 0x0
	s_barrier_signal -1
	s_barrier_wait -1
	global_inv scope:SCOPE_SE
	ds_store_2addr_b32 v0, v48, v55 offset1:5
	ds_store_2addr_b32 v0, v47, v51 offset0:10 offset1:15
	ds_store_2addr_b32 v0, v49, v56 offset0:20 offset1:25
	ds_store_2addr_b32 v0, v45, v53 offset0:30 offset1:35
	ds_store_2addr_b32 v0, v46, v50 offset0:40 offset1:45
	ds_store_b32 v0, v61 offset:200
	ds_store_b32 v0, v64 offset:240
	;; [unrolled: 1-line block ×3, first 2 shown]
	ds_store_b32 v57, v18
	ds_store_b32 v0, v72 offset:220
	ds_store_b32 v0, v75 offset:260
	ds_store_2addr_b32 v0, v80, v78 offset0:75 offset1:85
	ds_store_2addr_b32 v0, v71, v82 offset0:90 offset1:95
	ds_store_2addr_b32 v58, v54, v77 offset0:100 offset1:110
	ds_store_2addr_b32 v58, v81, v16 offset0:120 offset1:130
	ds_store_b32 v58, v85 offset:560
	ds_store_2addr_b32 v5, v86, v83 offset0:100 offset1:110
	ds_store_2addr_b32 v5, v84, v13 offset0:120 offset1:130
	ds_store_b32 v5, v52 offset:560
	global_wb scope:SCOPE_SE
	s_wait_dscnt 0x0
	s_barrier_signal -1
	s_barrier_wait -1
	global_inv scope:SCOPE_SE
	s_and_saveexec_b32 s0, vcc_lo
	s_cbranch_execz .LBB0_14
; %bb.13:
	v_dual_mov_b32 v66, v6 :: v_dual_lshlrev_b32 v65, 1, v67
	v_mul_lo_u32 v18, s3, v3
	v_lshlrev_b64_e32 v[1:2], 3, v[1:2]
	v_add_nc_u32_e32 v100, 20, v67
	s_delay_alu instid0(VALU_DEP_4) | instskip(NEXT) | instid1(VALU_DEP_1)
	v_add_nc_u32_e32 v5, 0x5a, v65
	v_lshlrev_b64_e32 v[45:46], 3, v[5:6]
	v_lshlrev_b32_e32 v5, 1, v68
	s_delay_alu instid0(VALU_DEP_1) | instskip(NEXT) | instid1(VALU_DEP_3)
	v_lshlrev_b64_e32 v[49:50], 3, v[5:6]
	v_add_co_u32 v45, vcc_lo, s8, v45
	s_wait_alu 0xfffd
	s_delay_alu instid0(VALU_DEP_4) | instskip(NEXT) | instid1(VALU_DEP_3)
	v_add_co_ci_u32_e32 v46, vcc_lo, s9, v46, vcc_lo
	v_add_co_u32 v49, vcc_lo, s8, v49
	global_load_b128 v[45:48], v[45:46], off offset:320
	s_wait_alu 0xfffd
	v_add_co_ci_u32_e32 v50, vcc_lo, s9, v50, vcc_lo
	v_add_nc_u32_e32 v5, 0x46, v65
	global_load_b128 v[49:52], v[49:50], off offset:320
	v_lshlrev_b64_e32 v[53:54], 3, v[5:6]
	v_add_nc_u32_e32 v5, 60, v65
	s_delay_alu instid0(VALU_DEP_1) | instskip(NEXT) | instid1(VALU_DEP_3)
	v_lshlrev_b64_e32 v[57:58], 3, v[5:6]
	v_add_co_u32 v53, vcc_lo, s8, v53
	s_wait_alu 0xfffd
	s_delay_alu instid0(VALU_DEP_4) | instskip(NEXT) | instid1(VALU_DEP_3)
	v_add_co_ci_u32_e32 v54, vcc_lo, s9, v54, vcc_lo
	v_add_co_u32 v57, vcc_lo, s8, v57
	s_wait_alu 0xfffd
	v_add_co_ci_u32_e32 v58, vcc_lo, s9, v58, vcc_lo
	global_load_b128 v[53:56], v[53:54], off offset:320
	v_lshlrev_b32_e32 v5, 1, v40
	global_load_b128 v[57:60], v[57:58], off offset:320
	v_lshlrev_b64_e32 v[61:62], 3, v[5:6]
	v_lshlrev_b32_e32 v5, 1, v39
	s_delay_alu instid0(VALU_DEP_2) | instskip(SKIP_1) | instid1(VALU_DEP_3)
	v_add_co_u32 v61, vcc_lo, s8, v61
	s_wait_alu 0xfffd
	v_add_co_ci_u32_e32 v62, vcc_lo, s9, v62, vcc_lo
	s_delay_alu instid0(VALU_DEP_3)
	v_lshlrev_b64_e32 v[39:40], 3, v[5:6]
	v_add_nc_u32_e32 v5, 30, v65
	global_load_b128 v[61:64], v[61:62], off offset:320
	v_add_co_u32 v39, vcc_lo, s8, v39
	s_wait_alu 0xfffd
	v_add_co_ci_u32_e32 v40, vcc_lo, s9, v40, vcc_lo
	global_load_b128 v[68:71], v[39:40], off offset:320
	v_lshlrev_b64_e32 v[39:40], 3, v[5:6]
	v_add_nc_u32_e32 v5, 20, v65
	s_delay_alu instid0(VALU_DEP_2) | instskip(SKIP_1) | instid1(VALU_DEP_3)
	v_add_co_u32 v39, vcc_lo, s8, v39
	s_wait_alu 0xfffd
	v_add_co_ci_u32_e32 v40, vcc_lo, s9, v40, vcc_lo
	global_load_b128 v[72:75], v[39:40], off offset:320
	v_lshlrev_b64_e32 v[39:40], 3, v[5:6]
	v_lshlrev_b32_e32 v5, 1, v43
	s_delay_alu instid0(VALU_DEP_2) | instskip(SKIP_1) | instid1(VALU_DEP_3)
	v_add_co_u32 v39, vcc_lo, s8, v39
	s_wait_alu 0xfffd
	v_add_co_ci_u32_e32 v40, vcc_lo, s9, v40, vcc_lo
	global_load_b128 v[76:79], v[39:40], off offset:320
	v_lshlrev_b64_e32 v[39:40], 3, v[5:6]
	s_delay_alu instid0(VALU_DEP_1) | instskip(SKIP_1) | instid1(VALU_DEP_2)
	v_add_co_u32 v39, vcc_lo, s8, v39
	s_wait_alu 0xfffd
	v_add_co_ci_u32_e32 v40, vcc_lo, s9, v40, vcc_lo
	global_load_b128 v[80:83], v[39:40], off offset:320
	v_lshlrev_b64_e32 v[39:40], 3, v[65:66]
	s_delay_alu instid0(VALU_DEP_1) | instskip(SKIP_1) | instid1(VALU_DEP_2)
	v_add_co_u32 v39, vcc_lo, s8, v39
	s_wait_alu 0xfffd
	v_add_co_ci_u32_e32 v40, vcc_lo, s9, v40, vcc_lo
	global_load_b128 v[84:87], v[39:40], off offset:320
	ds_load_2addr_b32 v[39:40], v0 offset0:90 offset1:95
	ds_load_2addr_b32 v[65:66], v0 offset0:140 offset1:145
	;; [unrolled: 1-line block ×4, first 2 shown]
	s_wait_loadcnt_dscnt 0x902
	v_mul_f32_e32 v13, v66, v48
	v_mul_f32_e32 v43, v36, v48
	;; [unrolled: 1-line block ×4, first 2 shown]
	s_delay_alu instid0(VALU_DEP_4) | instskip(NEXT) | instid1(VALU_DEP_4)
	v_fma_f32 v13, v36, v47, -v13
	v_fmac_f32_e32 v43, v47, v66
	v_mul_lo_u32 v47, s2, v4
	v_mad_co_u64_u32 v[3:4], null, s2, v3, 0
	s_wait_loadcnt 0x8
	v_mul_f32_e32 v93, v37, v50
	v_fmac_f32_e32 v16, v45, v40
	v_mul_f32_e32 v94, v35, v52
	v_mul_f32_e32 v36, v65, v52
	s_delay_alu instid0(VALU_DEP_4) | instskip(SKIP_1) | instid1(VALU_DEP_4)
	v_fmac_f32_e32 v93, v49, v39
	v_add3_u32 v4, v4, v47, v18
	v_fmac_f32_e32 v94, v51, v65
	s_delay_alu instid0(VALU_DEP_4)
	v_fma_f32 v95, v35, v51, -v36
	ds_load_2addr_b32 v[35:36], v0 offset0:35 offset1:45
	v_lshlrev_b64_e32 v[3:4], 3, v[3:4]
	s_wait_loadcnt_dscnt 0x601
	v_mul_f32_e32 v18, v90, v60
	v_mul_f32_e32 v60, v31, v60
	v_fma_f32 v92, v38, v45, -v5
	v_mul_f32_e32 v5, v39, v50
	ds_load_2addr_b32 v[39:40], v0 offset0:120 offset1:125
	v_add_co_u32 v3, vcc_lo, s6, v3
	v_fmac_f32_e32 v60, v59, v90
	s_wait_alu 0xfffd
	v_add_co_ci_u32_e32 v4, vcc_lo, s7, v4, vcc_lo
	s_delay_alu instid0(VALU_DEP_3) | instskip(SKIP_1) | instid1(VALU_DEP_2)
	v_add_co_u32 v1, vcc_lo, v3, v1
	s_wait_alu 0xfffd
	v_add_co_ci_u32_e32 v2, vcc_lo, v4, v2, vcc_lo
	ds_load_2addr_b32 v[3:4], v0 offset0:100 offset1:105
	s_wait_loadcnt_dscnt 0x501
	v_mul_f32_e32 v48, v40, v64
	v_fma_f32 v66, v37, v49, -v5
	ds_load_2addr_b32 v[37:38], v0 offset0:70 offset1:75
	v_dual_mul_f32 v64, v28, v64 :: v_dual_mul_f32 v5, v89, v54
	v_mul_f32_e32 v65, v34, v54
	v_add_nc_u32_e32 v49, 5, v67
	v_fma_f32 v90, v28, v63, -v48
	s_delay_alu instid0(VALU_DEP_4) | instskip(SKIP_4) | instid1(VALU_DEP_2)
	v_fmac_f32_e32 v64, v63, v40
	v_fma_f32 v96, v34, v53, -v5
	v_mul_f32_e32 v5, v88, v58
	v_mul_f32_e32 v58, v33, v58
	v_mul_hi_u32 v40, 0x51eb851f, v67
	v_fmac_f32_e32 v58, v57, v88
	s_wait_dscnt 0x0
	v_dual_sub_f32 v54, v16, v43 :: v_dual_mul_f32 v47, v38, v62
	v_dual_mul_f32 v62, v30, v62 :: v_dual_mul_f32 v45, v91, v56
	v_mul_f32_e32 v56, v32, v56
	s_wait_loadcnt 0x4
	v_mul_f32_e32 v28, v37, v69
	v_mul_f32_e32 v69, v29, v69
	v_fmac_f32_e32 v65, v53, v89
	v_fmac_f32_e32 v62, v61, v38
	;; [unrolled: 1-line block ×3, first 2 shown]
	v_fma_f32 v91, v31, v59, -v18
	v_add_nc_u32_e32 v18, 10, v67
	v_fma_f32 v98, v29, v68, -v28
	v_dual_fmac_f32 v69, v68, v37 :: v_dual_mul_f32 v68, v27, v71
	v_fma_f32 v89, v33, v57, -v5
	v_mul_hi_u32 v5, 0x51eb851f, v49
	v_mul_hi_u32 v50, 0x51eb851f, v18
	ds_load_2addr_b32 v[33:34], v0 offset0:110 offset1:115
	v_fma_f32 v97, v32, v55, -v45
	ds_load_2addr_b32 v[31:32], v0 offset0:60 offset1:65
	v_fma_f32 v88, v30, v61, -v47
	ds_load_2addr_b32 v[47:48], v0 offset0:50 offset1:55
	v_mul_f32_e32 v37, v39, v71
	v_lshrrev_b32_e32 v51, 4, v5
	v_lshrrev_b32_e32 v30, 4, v50
	s_wait_loadcnt 0x3
	v_dual_mul_f32 v101, v26, v73 :: v_dual_add_nc_u32 v50, 15, v67
	v_fmac_f32_e32 v68, v70, v39
	v_mul_lo_u32 v5, v51, 50
	v_mul_lo_u32 v38, v30, 50
	ds_load_2addr_b32 v[45:46], v0 offset0:25 offset1:30
	v_sub_f32_e32 v57, v93, v94
	v_sub_f32_e32 v61, v96, v97
	v_sub_nc_u32_e32 v5, v49, v5
	s_delay_alu instid0(VALU_DEP_1)
	v_mad_co_u64_u32 v[28:29], null, 0x96, v51, v[5:6]
	v_sub_nc_u32_e32 v5, v18, v38
	s_wait_dscnt 0x3
	v_mul_f32_e32 v18, v34, v75
	v_mov_b32_e32 v29, v6
	v_mul_f32_e32 v75, v24, v75
	v_mul_hi_u32 v51, 0x51eb851f, v100
	s_delay_alu instid0(VALU_DEP_4) | instskip(SKIP_1) | instid1(VALU_DEP_3)
	v_fma_f32 v103, v24, v74, -v18
	s_wait_loadcnt_dscnt 0x202
	v_dual_mul_f32 v18, v31, v77 :: v_dual_fmac_f32 v75, v74, v34
	v_dual_mul_f32 v24, v33, v79 :: v_dual_fmac_f32 v101, v72, v32
	s_delay_alu instid0(VALU_DEP_2) | instskip(SKIP_2) | instid1(VALU_DEP_4)
	v_fma_f32 v74, v25, v76, -v18
	v_mul_f32_e32 v25, v25, v77
	v_mul_f32_e32 v77, v23, v79
	v_fma_f32 v79, v23, v78, -v24
	v_lshrrev_b32_e32 v18, 4, v40
	s_wait_loadcnt 0x1
	v_mul_f32_e32 v40, v4, v83
	ds_load_2addr_b32 v[23:24], v0 offset0:5 offset1:10
	v_fmac_f32_e32 v77, v78, v33
	v_mul_f32_e32 v78, v22, v81
	v_fma_f32 v99, v27, v70, -v37
	v_mad_co_u64_u32 v[37:38], null, 0x96, v30, v[5:6]
	v_dual_mul_f32 v5, v32, v73 :: v_dual_mov_b32 v38, v6
	v_lshlrev_b64_e32 v[29:30], 3, v[28:29]
	s_wait_dscnt 0x2
	v_fmac_f32_e32 v78, v80, v48
	v_fmac_f32_e32 v25, v76, v31
	v_fma_f32 v102, v26, v72, -v5
	v_add_nc_u32_e32 v5, 50, v28
	v_lshlrev_b64_e32 v[26:27], 3, v[37:38]
	v_add_co_u32 v29, vcc_lo, v1, v29
	s_wait_alu 0xfffd
	v_add_co_ci_u32_e32 v30, vcc_lo, v2, v30, vcc_lo
	v_lshlrev_b64_e32 v[38:39], 3, v[5:6]
	v_add_nc_u32_e32 v5, 0x64, v28
	v_mul_hi_u32 v28, 0x51eb851f, v50
	v_add_co_u32 v26, vcc_lo, v1, v26
	s_wait_alu 0xfffd
	v_add_co_ci_u32_e32 v27, vcc_lo, v2, v27, vcc_lo
	v_lshlrev_b64_e32 v[31:32], 3, v[5:6]
	v_add_nc_u32_e32 v5, 50, v37
	v_add_co_u32 v33, vcc_lo, v1, v38
	v_lshrrev_b32_e32 v28, 4, v28
	s_wait_alu 0xfffd
	v_add_co_ci_u32_e32 v34, vcc_lo, v2, v39, vcc_lo
	v_lshlrev_b64_e32 v[38:39], 3, v[5:6]
	v_add_nc_u32_e32 v5, 0x64, v37
	v_mul_f32_e32 v37, v48, v81
	v_mul_f32_e32 v81, v20, v83
	v_mul_lo_u32 v18, v18, 50
	v_add_co_u32 v31, vcc_lo, v1, v31
	v_mul_lo_u32 v52, v28, 50
	s_delay_alu instid0(VALU_DEP_4)
	v_fmac_f32_e32 v81, v82, v4
	v_lshlrev_b64_e32 v[4:5], 3, v[5:6]
	s_wait_alu 0xfffd
	v_add_co_ci_u32_e32 v32, vcc_lo, v2, v32, vcc_lo
	v_fma_f32 v22, v22, v80, -v37
	v_add_co_u32 v37, vcc_lo, v1, v38
	v_fma_f32 v83, v20, v82, -v40
	ds_load_2addr_b32 v[48:49], v0 offset0:15 offset1:20
	ds_load_b32 v20, v42
	ds_load_b32 v80, v41
	s_wait_alu 0xfffd
	v_add_co_ci_u32_e32 v38, vcc_lo, v2, v39, vcc_lo
	v_add_co_u32 v39, vcc_lo, v1, v4
	s_wait_alu 0xfffd
	v_add_co_ci_u32_e32 v40, vcc_lo, v2, v5, vcc_lo
	v_sub_nc_u32_e32 v0, v50, v52
	v_add_f32_e32 v50, v92, v13
	s_wait_loadcnt 0x0
	v_mul_f32_e32 v4, v47, v85
	v_sub_nc_u32_e32 v5, v67, v18
	v_mul_f32_e32 v82, v21, v85
	v_dual_sub_f32 v70, v62, v64 :: v_dual_mul_f32 v85, v19, v87
	v_mad_co_u64_u32 v[41:42], null, 0x96, v28, v[0:1]
	v_mul_f32_e32 v0, v3, v87
	v_fma_f32 v28, v21, v84, -v4
	s_delay_alu instid0(VALU_DEP_4) | instskip(SKIP_3) | instid1(VALU_DEP_4)
	v_dual_fmac_f32 v85, v86, v3 :: v_dual_lshlrev_b32 v4, 3, v5
	v_add_f32_e32 v3, v16, v43
	v_lshrrev_b32_e32 v104, 4, v51
	v_fmac_f32_e32 v82, v84, v47
	v_add_co_u32 v18, vcc_lo, v1, v4
	v_sub_f32_e32 v47, v92, v13
	v_add_f32_e32 v21, v16, v36
	v_add_f32_e32 v51, v15, v92
	v_fma_f32 v4, -0.5, v3, v36
	v_add_f32_e32 v36, v93, v94
	v_fma_f32 v3, -0.5, v50, v15
	v_dual_add_f32 v16, v43, v21 :: v_dual_add_f32 v43, v66, v95
	v_add_f32_e32 v15, v51, v13
	v_fmamk_f32 v21, v47, 0x3f5db3d7, v4
	v_fmac_f32_e32 v4, 0xbf5db3d7, v47
	s_wait_dscnt 0x1
	v_fma_f32 v51, -0.5, v36, v20
	v_dual_add_f32 v36, v44, v66 :: v_dual_sub_f32 v47, v66, v95
	v_sub_f32_e32 v66, v58, v60
	v_add_f32_e32 v13, v93, v20
	v_add_nc_u32_e32 v105, 25, v67
	v_fma_f32 v50, -0.5, v43, v44
	v_add_f32_e32 v43, v36, v95
	v_dual_fmamk_f32 v55, v47, 0x3f5db3d7, v51 :: v_dual_sub_f32 v76, v69, v68
	v_dual_add_f32 v44, v94, v13 :: v_dual_add_f32 v13, v65, v56
	v_fmac_f32_e32 v51, 0xbf5db3d7, v47
	v_add_f32_e32 v47, v65, v35
	v_add_f32_e32 v73, v10, v98
	;; [unrolled: 1-line block ×3, first 2 shown]
	v_fma_f32 v36, -0.5, v13, v35
	v_dual_fmamk_f32 v20, v54, 0xbf5db3d7, v3 :: v_dual_add_nc_u32 v5, 50, v41
	v_dual_fmac_f32 v3, 0x3f5db3d7, v54 :: v_dual_add_f32 v72, v69, v49
	v_fmamk_f32 v54, v57, 0xbf5db3d7, v50
	v_dual_fmac_f32 v50, 0x3f5db3d7, v57 :: v_dual_add_f32 v13, v14, v96
	v_add_f32_e32 v57, v56, v47
	v_fma_f32 v35, -0.5, v59, v14
	v_dual_add_f32 v47, v58, v60 :: v_dual_sub_f32 v84, v101, v75
	v_fmamk_f32 v14, v61, 0x3f5db3d7, v36
	v_dual_fmac_f32 v36, 0xbf5db3d7, v61 :: v_dual_add_f32 v61, v89, v91
	v_sub_f32_e32 v63, v65, v56
	v_sub_f32_e32 v65, v89, v91
	v_dual_add_f32 v59, v58, v46 :: v_dual_add_f32 v58, v12, v89
	v_fma_f32 v47, -0.5, v47, v46
	v_fma_f32 v46, -0.5, v61, v12
	v_add_f32_e32 v12, v62, v64
	v_lshlrev_b64_e32 v[52:53], 3, v[5:6]
	v_add_nc_u32_e32 v5, 0x64, v41
	v_add_f32_e32 v59, v60, v59
	v_fmamk_f32 v61, v65, 0x3f5db3d7, v47
	v_dual_fmac_f32 v47, 0xbf5db3d7, v65 :: v_dual_fmamk_f32 v60, v66, 0xbf5db3d7, v46
	v_fmac_f32_e32 v46, 0x3f5db3d7, v66
	v_add_f32_e32 v65, v88, v90
	v_fma_f32 v12, -0.5, v12, v45
	v_sub_f32_e32 v66, v88, v90
	v_fma_f32 v0, v19, v86, -v0
	v_dual_add_f32 v56, v13, v97 :: v_dual_fmamk_f32 v13, v63, 0xbf5db3d7, v35
	v_fmac_f32_e32 v35, 0x3f5db3d7, v63
	v_add_f32_e32 v63, v62, v45
	v_add_f32_e32 v45, v11, v88
	v_fma_f32 v11, -0.5, v65, v11
	v_add_f32_e32 v71, v69, v68
	v_fmamk_f32 v65, v66, 0x3f5db3d7, v12
	v_fmac_f32_e32 v12, 0xbf5db3d7, v66
	v_add_f32_e32 v66, v98, v99
	v_dual_add_f32 v62, v45, v90 :: v_dual_sub_f32 v45, v98, v99
	v_fma_f32 v69, -0.5, v71, v49
	v_add_f32_e32 v71, v68, v72
	s_delay_alu instid0(VALU_DEP_4)
	v_fma_f32 v68, -0.5, v66, v10
	v_add_f32_e32 v10, v101, v75
	v_dual_add_f32 v63, v64, v63 :: v_dual_fmamk_f32 v64, v70, 0xbf5db3d7, v11
	s_wait_dscnt 0x0
	v_dual_fmac_f32 v11, 0x3f5db3d7, v70 :: v_dual_add_f32 v90, v82, v80
	v_add_f32_e32 v70, v73, v99
	v_fmamk_f32 v73, v45, 0x3f5db3d7, v69
	v_fmamk_f32 v72, v76, 0xbf5db3d7, v68
	v_fmac_f32_e32 v68, 0x3f5db3d7, v76
	v_add_f32_e32 v66, v102, v103
	v_fma_f32 v10, -0.5, v10, v48
	v_dual_sub_f32 v76, v102, v103 :: v_dual_sub_f32 v87, v25, v77
	v_fmac_f32_e32 v69, 0xbf5db3d7, v45
	v_add_f32_e32 v45, v101, v48
	v_add_f32_e32 v48, v9, v102
	v_fma_f32 v9, -0.5, v66, v9
	v_add_f32_e32 v66, v25, v77
	s_delay_alu instid0(VALU_DEP_4)
	v_dual_add_f32 v86, v25, v24 :: v_dual_add_f32 v49, v75, v45
	v_fmamk_f32 v75, v76, 0x3f5db3d7, v10
	v_fmac_f32_e32 v10, 0xbf5db3d7, v76
	v_add_f32_e32 v76, v74, v79
	v_add_f32_e32 v88, v8, v74
	v_fma_f32 v25, -0.5, v66, v24
	v_add_f32_e32 v66, v78, v23
	v_add_f32_e32 v89, v82, v85
	v_fma_f32 v24, -0.5, v76, v8
	v_add_f32_e32 v8, v78, v81
	v_add_f32_e32 v76, v88, v79
	v_sub_f32_e32 v88, v78, v81
	v_mul_lo_u32 v106, v104, 50
	s_wait_alu 0xfffd
	v_add_co_ci_u32_e32 v19, vcc_lo, 0, v2, vcc_lo
	v_fma_f32 v8, -0.5, v8, v23
	v_dual_add_f32 v23, v81, v66 :: v_dual_sub_f32 v66, v82, v85
	v_sub_f32_e32 v45, v74, v79
	v_dual_add_f32 v79, v22, v83 :: v_dual_fmamk_f32 v74, v84, 0xbf5db3d7, v9
	v_dual_fmac_f32 v9, 0x3f5db3d7, v84 :: v_dual_sub_f32 v84, v22, v83
	v_add_f32_e32 v22, v7, v22
	s_delay_alu instid0(VALU_DEP_3)
	v_fma_f32 v7, -0.5, v79, v7
	v_fmamk_f32 v79, v45, 0x3f5db3d7, v25
	v_fmac_f32_e32 v25, 0xbf5db3d7, v45
	v_add_f32_e32 v45, v28, v0
	v_dual_add_f32 v77, v77, v86 :: v_dual_sub_f32 v86, v28, v0
	v_add_f32_e32 v28, v17, v28
	v_fma_f32 v81, -0.5, v89, v80
	s_delay_alu instid0(VALU_DEP_4) | instskip(SKIP_1) | instid1(VALU_DEP_4)
	v_fma_f32 v80, -0.5, v45, v17
	v_dual_add_f32 v22, v22, v83 :: v_dual_add_f32 v83, v85, v90
	v_add_f32_e32 v82, v28, v0
	v_fmamk_f32 v78, v87, 0xbf5db3d7, v24
	v_dual_fmac_f32 v24, 0x3f5db3d7, v87 :: v_dual_fmamk_f32 v87, v86, 0x3f5db3d7, v81
	v_dual_fmac_f32 v81, 0xbf5db3d7, v86 :: v_dual_fmamk_f32 v86, v66, 0xbf5db3d7, v80
	v_fmac_f32_e32 v80, 0x3f5db3d7, v66
	v_dual_mov_b32 v42, v6 :: v_dual_fmamk_f32 v85, v84, 0x3f5db3d7, v8
	v_fmac_f32_e32 v8, 0xbf5db3d7, v84
	v_fmamk_f32 v84, v88, 0xbf5db3d7, v7
	v_fmac_f32_e32 v7, 0x3f5db3d7, v88
	s_clause 0x8
	global_store_b64 v[18:19], v[82:83], off
	global_store_b64 v[18:19], v[80:81], off offset:400
	global_store_b64 v[18:19], v[86:87], off offset:800
	global_store_b64 v[29:30], v[22:23], off
	global_store_b64 v[33:34], v[7:8], off
	;; [unrolled: 1-line block ×6, first 2 shown]
	v_lshlrev_b64_e32 v[17:18], 3, v[5:6]
	v_mul_hi_u32 v5, 0x51eb851f, v105
	v_sub_nc_u32_e32 v0, v100, v106
	v_lshlrev_b64_e32 v[41:42], 3, v[41:42]
	v_add_f32_e32 v48, v48, v103
	v_add_f32_e32 v58, v58, v91
	s_delay_alu instid0(VALU_DEP_4)
	v_mad_co_u64_u32 v[24:25], null, 0x96, v104, v[0:1]
	v_lshrrev_b32_e32 v19, 4, v5
	v_add_co_u32 v7, vcc_lo, v1, v41
	s_wait_alu 0xfffd
	v_add_co_ci_u32_e32 v8, vcc_lo, v2, v42, vcc_lo
	v_add_co_u32 v22, vcc_lo, v1, v52
	v_mul_lo_u32 v0, v19, 50
	s_wait_alu 0xfffd
	v_add_co_ci_u32_e32 v23, vcc_lo, v2, v53, vcc_lo
	v_add_co_u32 v17, vcc_lo, v1, v17
	v_mov_b32_e32 v25, v6
	v_add_nc_u32_e32 v5, 50, v24
	s_wait_alu 0xfffd
	v_add_co_ci_u32_e32 v18, vcc_lo, v2, v18, vcc_lo
	s_clause 0x2
	global_store_b64 v[7:8], v[48:49], off
	global_store_b64 v[22:23], v[9:10], off
	;; [unrolled: 1-line block ×3, first 2 shown]
	v_lshlrev_b64_e32 v[7:8], 3, v[24:25]
	v_lshlrev_b64_e32 v[9:10], 3, v[5:6]
	v_add_nc_u32_e32 v5, 0x64, v24
	v_sub_nc_u32_e32 v0, v105, v0
	v_add_nc_u32_e32 v24, 30, v67
	v_add_nc_u32_e32 v25, 35, v67
	v_add_co_u32 v7, vcc_lo, v1, v7
	s_delay_alu instid0(VALU_DEP_4) | instskip(NEXT) | instid1(VALU_DEP_4)
	v_mad_co_u64_u32 v[22:23], null, 0x96, v19, v[0:1]
	v_mul_hi_u32 v0, 0x51eb851f, v24
	v_lshlrev_b64_e32 v[17:18], 3, v[5:6]
	s_wait_alu 0xfffd
	v_add_co_ci_u32_e32 v8, vcc_lo, v2, v8, vcc_lo
	v_add_co_u32 v9, vcc_lo, v1, v9
	s_wait_alu 0xfffd
	v_add_co_ci_u32_e32 v10, vcc_lo, v2, v10, vcc_lo
	v_lshrrev_b32_e32 v19, 4, v0
	v_add_co_u32 v17, vcc_lo, v1, v17
	v_add_nc_u32_e32 v5, 50, v22
	v_mov_b32_e32 v23, v6
	s_delay_alu instid0(VALU_DEP_4)
	v_mul_lo_u32 v0, v19, 50
	s_wait_alu 0xfffd
	v_add_co_ci_u32_e32 v18, vcc_lo, v2, v18, vcc_lo
	s_clause 0x2
	global_store_b64 v[7:8], v[70:71], off
	global_store_b64 v[9:10], v[68:69], off
	;; [unrolled: 1-line block ×3, first 2 shown]
	v_lshlrev_b64_e32 v[9:10], 3, v[5:6]
	v_add_nc_u32_e32 v5, 0x64, v22
	v_lshlrev_b64_e32 v[7:8], 3, v[22:23]
	v_sub_nc_u32_e32 v0, v24, v0
	s_delay_alu instid0(VALU_DEP_3) | instskip(SKIP_1) | instid1(VALU_DEP_3)
	v_lshlrev_b64_e32 v[17:18], 3, v[5:6]
	v_mul_hi_u32 v5, 0x51eb851f, v25
	v_mad_co_u64_u32 v[22:23], null, 0x96, v19, v[0:1]
	v_add_co_u32 v7, vcc_lo, v1, v7
	s_wait_alu 0xfffd
	v_add_co_ci_u32_e32 v8, vcc_lo, v2, v8, vcc_lo
	v_add_co_u32 v9, vcc_lo, v1, v9
	s_wait_alu 0xfffd
	v_add_co_ci_u32_e32 v10, vcc_lo, v2, v10, vcc_lo
	v_lshrrev_b32_e32 v19, 4, v5
	v_add_co_u32 v17, vcc_lo, v1, v17
	v_mov_b32_e32 v23, v6
	v_add_nc_u32_e32 v5, 50, v22
	s_wait_alu 0xfffd
	v_add_co_ci_u32_e32 v18, vcc_lo, v2, v18, vcc_lo
	v_mul_lo_u32 v0, v19, 50
	s_clause 0x2
	global_store_b64 v[7:8], v[62:63], off
	global_store_b64 v[9:10], v[11:12], off
	;; [unrolled: 1-line block ×3, first 2 shown]
	v_lshlrev_b64_e32 v[7:8], 3, v[22:23]
	v_lshlrev_b64_e32 v[9:10], 3, v[5:6]
	v_add_nc_u32_e32 v5, 0x64, v22
	v_add_nc_u32_e32 v22, 40, v67
	v_sub_nc_u32_e32 v0, v25, v0
	v_add_co_u32 v7, vcc_lo, v1, v7
	s_delay_alu instid0(VALU_DEP_3) | instskip(SKIP_1) | instid1(VALU_DEP_4)
	v_mul_hi_u32 v23, 0x51eb851f, v22
	v_lshlrev_b64_e32 v[11:12], 3, v[5:6]
	v_mad_co_u64_u32 v[17:18], null, 0x96, v19, v[0:1]
	s_wait_alu 0xfffd
	v_add_co_ci_u32_e32 v8, vcc_lo, v2, v8, vcc_lo
	v_add_co_u32 v9, vcc_lo, v1, v9
	v_lshrrev_b32_e32 v19, 4, v23
	v_add_nc_u32_e32 v23, 45, v67
	s_wait_alu 0xfffd
	v_add_co_ci_u32_e32 v10, vcc_lo, v2, v10, vcc_lo
	v_add_co_u32 v11, vcc_lo, v1, v11
	v_mul_lo_u32 v0, v19, 50
	v_dual_mov_b32 v18, v6 :: v_dual_add_nc_u32 v5, 50, v17
	s_wait_alu 0xfffd
	v_add_co_ci_u32_e32 v12, vcc_lo, v2, v12, vcc_lo
	s_clause 0x2
	global_store_b64 v[7:8], v[58:59], off
	global_store_b64 v[9:10], v[46:47], off
	;; [unrolled: 1-line block ×3, first 2 shown]
	v_lshlrev_b64_e32 v[7:8], 3, v[17:18]
	v_sub_nc_u32_e32 v0, v22, v0
	v_mul_hi_u32 v22, 0x51eb851f, v23
	v_lshlrev_b64_e32 v[9:10], 3, v[5:6]
	v_add_nc_u32_e32 v5, 0x64, v17
	s_delay_alu instid0(VALU_DEP_4) | instskip(SKIP_2) | instid1(VALU_DEP_4)
	v_mad_co_u64_u32 v[17:18], null, 0x96, v19, v[0:1]
	v_add_co_u32 v7, vcc_lo, v1, v7
	v_lshrrev_b32_e32 v19, 4, v22
	v_lshlrev_b64_e32 v[11:12], 3, v[5:6]
	s_wait_alu 0xfffd
	v_add_co_ci_u32_e32 v8, vcc_lo, v2, v8, vcc_lo
	v_add_co_u32 v9, vcc_lo, v1, v9
	v_mul_lo_u32 v0, v19, 50
	s_wait_alu 0xfffd
	v_add_co_ci_u32_e32 v10, vcc_lo, v2, v10, vcc_lo
	v_add_co_u32 v11, vcc_lo, v1, v11
	s_wait_alu 0xfffd
	v_add_co_ci_u32_e32 v12, vcc_lo, v2, v12, vcc_lo
	v_mov_b32_e32 v18, v6
	v_sub_nc_u32_e32 v0, v23, v0
	v_add_nc_u32_e32 v5, 50, v17
	s_clause 0x2
	global_store_b64 v[7:8], v[56:57], off
	global_store_b64 v[9:10], v[35:36], off
	;; [unrolled: 1-line block ×3, first 2 shown]
	v_lshlrev_b64_e32 v[7:8], 3, v[17:18]
	v_mad_co_u64_u32 v[11:12], null, 0x96, v19, v[0:1]
	v_lshlrev_b64_e32 v[9:10], 3, v[5:6]
	v_dual_mov_b32 v12, v6 :: v_dual_add_nc_u32 v5, 0x64, v17
	s_delay_alu instid0(VALU_DEP_4) | instskip(SKIP_2) | instid1(VALU_DEP_3)
	v_add_co_u32 v7, vcc_lo, v1, v7
	s_wait_alu 0xfffd
	v_add_co_ci_u32_e32 v8, vcc_lo, v2, v8, vcc_lo
	v_lshlrev_b64_e32 v[13:14], 3, v[5:6]
	v_add_nc_u32_e32 v5, 50, v11
	v_add_co_u32 v9, vcc_lo, v1, v9
	v_lshlrev_b64_e32 v[17:18], 3, v[11:12]
	s_wait_alu 0xfffd
	v_add_co_ci_u32_e32 v10, vcc_lo, v2, v10, vcc_lo
	v_lshlrev_b64_e32 v[22:23], 3, v[5:6]
	v_add_nc_u32_e32 v5, 0x64, v11
	v_add_co_u32 v12, vcc_lo, v1, v13
	s_wait_alu 0xfffd
	v_add_co_ci_u32_e32 v13, vcc_lo, v2, v14, vcc_lo
	v_add_co_u32 v17, vcc_lo, v1, v17
	v_lshlrev_b64_e32 v[5:6], 3, v[5:6]
	s_wait_alu 0xfffd
	v_add_co_ci_u32_e32 v18, vcc_lo, v2, v18, vcc_lo
	v_add_co_u32 v22, vcc_lo, v1, v22
	s_wait_alu 0xfffd
	v_add_co_ci_u32_e32 v23, vcc_lo, v2, v23, vcc_lo
	v_add_co_u32 v0, vcc_lo, v1, v5
	s_wait_alu 0xfffd
	v_add_co_ci_u32_e32 v1, vcc_lo, v2, v6, vcc_lo
	s_clause 0x5
	global_store_b64 v[7:8], v[43:44], off
	global_store_b64 v[9:10], v[50:51], off
	;; [unrolled: 1-line block ×6, first 2 shown]
.LBB0_14:
	s_nop 0
	s_sendmsg sendmsg(MSG_DEALLOC_VGPRS)
	s_endpgm
	.section	.rodata,"a",@progbits
	.p2align	6, 0x0
	.amdhsa_kernel fft_rtc_fwd_len150_factors_10_5_3_wgs_60_tpt_5_halfLds_sp_op_CI_CI_unitstride_sbrr_dirReg
		.amdhsa_group_segment_fixed_size 0
		.amdhsa_private_segment_fixed_size 0
		.amdhsa_kernarg_size 104
		.amdhsa_user_sgpr_count 2
		.amdhsa_user_sgpr_dispatch_ptr 0
		.amdhsa_user_sgpr_queue_ptr 0
		.amdhsa_user_sgpr_kernarg_segment_ptr 1
		.amdhsa_user_sgpr_dispatch_id 0
		.amdhsa_user_sgpr_private_segment_size 0
		.amdhsa_wavefront_size32 1
		.amdhsa_uses_dynamic_stack 0
		.amdhsa_enable_private_segment 0
		.amdhsa_system_sgpr_workgroup_id_x 1
		.amdhsa_system_sgpr_workgroup_id_y 0
		.amdhsa_system_sgpr_workgroup_id_z 0
		.amdhsa_system_sgpr_workgroup_info 0
		.amdhsa_system_vgpr_workitem_id 0
		.amdhsa_next_free_vgpr 107
		.amdhsa_next_free_sgpr 39
		.amdhsa_reserve_vcc 1
		.amdhsa_float_round_mode_32 0
		.amdhsa_float_round_mode_16_64 0
		.amdhsa_float_denorm_mode_32 3
		.amdhsa_float_denorm_mode_16_64 3
		.amdhsa_fp16_overflow 0
		.amdhsa_workgroup_processor_mode 1
		.amdhsa_memory_ordered 1
		.amdhsa_forward_progress 0
		.amdhsa_round_robin_scheduling 0
		.amdhsa_exception_fp_ieee_invalid_op 0
		.amdhsa_exception_fp_denorm_src 0
		.amdhsa_exception_fp_ieee_div_zero 0
		.amdhsa_exception_fp_ieee_overflow 0
		.amdhsa_exception_fp_ieee_underflow 0
		.amdhsa_exception_fp_ieee_inexact 0
		.amdhsa_exception_int_div_zero 0
	.end_amdhsa_kernel
	.text
.Lfunc_end0:
	.size	fft_rtc_fwd_len150_factors_10_5_3_wgs_60_tpt_5_halfLds_sp_op_CI_CI_unitstride_sbrr_dirReg, .Lfunc_end0-fft_rtc_fwd_len150_factors_10_5_3_wgs_60_tpt_5_halfLds_sp_op_CI_CI_unitstride_sbrr_dirReg
                                        ; -- End function
	.section	.AMDGPU.csdata,"",@progbits
; Kernel info:
; codeLenInByte = 12512
; NumSgprs: 41
; NumVgprs: 107
; ScratchSize: 0
; MemoryBound: 0
; FloatMode: 240
; IeeeMode: 1
; LDSByteSize: 0 bytes/workgroup (compile time only)
; SGPRBlocks: 5
; VGPRBlocks: 13
; NumSGPRsForWavesPerEU: 41
; NumVGPRsForWavesPerEU: 107
; Occupancy: 12
; WaveLimiterHint : 1
; COMPUTE_PGM_RSRC2:SCRATCH_EN: 0
; COMPUTE_PGM_RSRC2:USER_SGPR: 2
; COMPUTE_PGM_RSRC2:TRAP_HANDLER: 0
; COMPUTE_PGM_RSRC2:TGID_X_EN: 1
; COMPUTE_PGM_RSRC2:TGID_Y_EN: 0
; COMPUTE_PGM_RSRC2:TGID_Z_EN: 0
; COMPUTE_PGM_RSRC2:TIDIG_COMP_CNT: 0
	.text
	.p2alignl 7, 3214868480
	.fill 96, 4, 3214868480
	.type	__hip_cuid_55dee3d7c3bc7313,@object ; @__hip_cuid_55dee3d7c3bc7313
	.section	.bss,"aw",@nobits
	.globl	__hip_cuid_55dee3d7c3bc7313
__hip_cuid_55dee3d7c3bc7313:
	.byte	0                               ; 0x0
	.size	__hip_cuid_55dee3d7c3bc7313, 1

	.ident	"AMD clang version 19.0.0git (https://github.com/RadeonOpenCompute/llvm-project roc-6.4.0 25133 c7fe45cf4b819c5991fe208aaa96edf142730f1d)"
	.section	".note.GNU-stack","",@progbits
	.addrsig
	.addrsig_sym __hip_cuid_55dee3d7c3bc7313
	.amdgpu_metadata
---
amdhsa.kernels:
  - .args:
      - .actual_access:  read_only
        .address_space:  global
        .offset:         0
        .size:           8
        .value_kind:     global_buffer
      - .offset:         8
        .size:           8
        .value_kind:     by_value
      - .actual_access:  read_only
        .address_space:  global
        .offset:         16
        .size:           8
        .value_kind:     global_buffer
      - .actual_access:  read_only
        .address_space:  global
        .offset:         24
        .size:           8
        .value_kind:     global_buffer
      - .actual_access:  read_only
        .address_space:  global
        .offset:         32
        .size:           8
        .value_kind:     global_buffer
      - .offset:         40
        .size:           8
        .value_kind:     by_value
      - .actual_access:  read_only
        .address_space:  global
        .offset:         48
        .size:           8
        .value_kind:     global_buffer
      - .actual_access:  read_only
        .address_space:  global
        .offset:         56
        .size:           8
        .value_kind:     global_buffer
      - .offset:         64
        .size:           4
        .value_kind:     by_value
      - .actual_access:  read_only
        .address_space:  global
        .offset:         72
        .size:           8
        .value_kind:     global_buffer
      - .actual_access:  read_only
        .address_space:  global
        .offset:         80
        .size:           8
        .value_kind:     global_buffer
      - .actual_access:  read_only
        .address_space:  global
        .offset:         88
        .size:           8
        .value_kind:     global_buffer
      - .actual_access:  write_only
        .address_space:  global
        .offset:         96
        .size:           8
        .value_kind:     global_buffer
    .group_segment_fixed_size: 0
    .kernarg_segment_align: 8
    .kernarg_segment_size: 104
    .language:       OpenCL C
    .language_version:
      - 2
      - 0
    .max_flat_workgroup_size: 60
    .name:           fft_rtc_fwd_len150_factors_10_5_3_wgs_60_tpt_5_halfLds_sp_op_CI_CI_unitstride_sbrr_dirReg
    .private_segment_fixed_size: 0
    .sgpr_count:     41
    .sgpr_spill_count: 0
    .symbol:         fft_rtc_fwd_len150_factors_10_5_3_wgs_60_tpt_5_halfLds_sp_op_CI_CI_unitstride_sbrr_dirReg.kd
    .uniform_work_group_size: 1
    .uses_dynamic_stack: false
    .vgpr_count:     107
    .vgpr_spill_count: 0
    .wavefront_size: 32
    .workgroup_processor_mode: 1
amdhsa.target:   amdgcn-amd-amdhsa--gfx1201
amdhsa.version:
  - 1
  - 2
...

	.end_amdgpu_metadata
